;; amdgpu-corpus repo=ROCm/rocFFT kind=compiled arch=gfx906 opt=O3
	.text
	.amdgcn_target "amdgcn-amd-amdhsa--gfx906"
	.amdhsa_code_object_version 6
	.protected	fft_rtc_back_len924_factors_2_2_3_7_11_wgs_44_tpt_44_halfLds_sp_ip_CI_unitstride_sbrr_R2C_dirReg ; -- Begin function fft_rtc_back_len924_factors_2_2_3_7_11_wgs_44_tpt_44_halfLds_sp_ip_CI_unitstride_sbrr_R2C_dirReg
	.globl	fft_rtc_back_len924_factors_2_2_3_7_11_wgs_44_tpt_44_halfLds_sp_ip_CI_unitstride_sbrr_R2C_dirReg
	.p2align	8
	.type	fft_rtc_back_len924_factors_2_2_3_7_11_wgs_44_tpt_44_halfLds_sp_ip_CI_unitstride_sbrr_R2C_dirReg,@function
fft_rtc_back_len924_factors_2_2_3_7_11_wgs_44_tpt_44_halfLds_sp_ip_CI_unitstride_sbrr_R2C_dirReg: ; @fft_rtc_back_len924_factors_2_2_3_7_11_wgs_44_tpt_44_halfLds_sp_ip_CI_unitstride_sbrr_R2C_dirReg
; %bb.0:
	s_load_dwordx2 s[12:13], s[4:5], 0x50
	s_load_dwordx4 s[8:11], s[4:5], 0x0
	s_load_dwordx2 s[2:3], s[4:5], 0x18
	v_mul_u32_u24_e32 v1, 0x5d2, v0
	v_add_u32_sdwa v5, s6, v1 dst_sel:DWORD dst_unused:UNUSED_PAD src0_sel:DWORD src1_sel:WORD_1
	v_mov_b32_e32 v3, 0
	s_waitcnt lgkmcnt(0)
	v_cmp_lt_u64_e64 s[0:1], s[10:11], 2
	v_mov_b32_e32 v1, 0
	v_mov_b32_e32 v6, v3
	s_and_b64 vcc, exec, s[0:1]
	v_mov_b32_e32 v2, 0
	s_cbranch_vccnz .LBB0_8
; %bb.1:
	s_load_dwordx2 s[0:1], s[4:5], 0x10
	s_add_u32 s6, s2, 8
	s_addc_u32 s7, s3, 0
	v_mov_b32_e32 v1, 0
	v_mov_b32_e32 v2, 0
	s_waitcnt lgkmcnt(0)
	s_add_u32 s14, s0, 8
	s_addc_u32 s15, s1, 0
	s_mov_b64 s[16:17], 1
.LBB0_2:                                ; =>This Inner Loop Header: Depth=1
	s_load_dwordx2 s[18:19], s[14:15], 0x0
                                        ; implicit-def: $vgpr7_vgpr8
	s_waitcnt lgkmcnt(0)
	v_or_b32_e32 v4, s19, v6
	v_cmp_ne_u64_e32 vcc, 0, v[3:4]
	s_and_saveexec_b64 s[0:1], vcc
	s_xor_b64 s[20:21], exec, s[0:1]
	s_cbranch_execz .LBB0_4
; %bb.3:                                ;   in Loop: Header=BB0_2 Depth=1
	v_cvt_f32_u32_e32 v4, s18
	v_cvt_f32_u32_e32 v7, s19
	s_sub_u32 s0, 0, s18
	s_subb_u32 s1, 0, s19
	v_mac_f32_e32 v4, 0x4f800000, v7
	v_rcp_f32_e32 v4, v4
	v_mul_f32_e32 v4, 0x5f7ffffc, v4
	v_mul_f32_e32 v7, 0x2f800000, v4
	v_trunc_f32_e32 v7, v7
	v_mac_f32_e32 v4, 0xcf800000, v7
	v_cvt_u32_f32_e32 v7, v7
	v_cvt_u32_f32_e32 v4, v4
	v_mul_lo_u32 v8, s0, v7
	v_mul_hi_u32 v9, s0, v4
	v_mul_lo_u32 v11, s1, v4
	v_mul_lo_u32 v10, s0, v4
	v_add_u32_e32 v8, v9, v8
	v_add_u32_e32 v8, v8, v11
	v_mul_hi_u32 v9, v4, v10
	v_mul_lo_u32 v11, v4, v8
	v_mul_hi_u32 v13, v4, v8
	v_mul_hi_u32 v12, v7, v10
	v_mul_lo_u32 v10, v7, v10
	v_mul_hi_u32 v14, v7, v8
	v_add_co_u32_e32 v9, vcc, v9, v11
	v_addc_co_u32_e32 v11, vcc, 0, v13, vcc
	v_mul_lo_u32 v8, v7, v8
	v_add_co_u32_e32 v9, vcc, v9, v10
	v_addc_co_u32_e32 v9, vcc, v11, v12, vcc
	v_addc_co_u32_e32 v10, vcc, 0, v14, vcc
	v_add_co_u32_e32 v8, vcc, v9, v8
	v_addc_co_u32_e32 v9, vcc, 0, v10, vcc
	v_add_co_u32_e32 v4, vcc, v4, v8
	v_addc_co_u32_e32 v7, vcc, v7, v9, vcc
	v_mul_lo_u32 v8, s0, v7
	v_mul_hi_u32 v9, s0, v4
	v_mul_lo_u32 v10, s1, v4
	v_mul_lo_u32 v11, s0, v4
	v_add_u32_e32 v8, v9, v8
	v_add_u32_e32 v8, v8, v10
	v_mul_lo_u32 v12, v4, v8
	v_mul_hi_u32 v13, v4, v11
	v_mul_hi_u32 v14, v4, v8
	;; [unrolled: 1-line block ×3, first 2 shown]
	v_mul_lo_u32 v11, v7, v11
	v_mul_hi_u32 v9, v7, v8
	v_add_co_u32_e32 v12, vcc, v13, v12
	v_addc_co_u32_e32 v13, vcc, 0, v14, vcc
	v_mul_lo_u32 v8, v7, v8
	v_add_co_u32_e32 v11, vcc, v12, v11
	v_addc_co_u32_e32 v10, vcc, v13, v10, vcc
	v_addc_co_u32_e32 v9, vcc, 0, v9, vcc
	v_add_co_u32_e32 v8, vcc, v10, v8
	v_addc_co_u32_e32 v9, vcc, 0, v9, vcc
	v_add_co_u32_e32 v4, vcc, v4, v8
	v_addc_co_u32_e32 v9, vcc, v7, v9, vcc
	v_mad_u64_u32 v[7:8], s[0:1], v5, v9, 0
	v_mul_hi_u32 v10, v5, v4
	v_add_co_u32_e32 v11, vcc, v10, v7
	v_addc_co_u32_e32 v12, vcc, 0, v8, vcc
	v_mad_u64_u32 v[7:8], s[0:1], v6, v4, 0
	v_mad_u64_u32 v[9:10], s[0:1], v6, v9, 0
	v_add_co_u32_e32 v4, vcc, v11, v7
	v_addc_co_u32_e32 v4, vcc, v12, v8, vcc
	v_addc_co_u32_e32 v7, vcc, 0, v10, vcc
	v_add_co_u32_e32 v4, vcc, v4, v9
	v_addc_co_u32_e32 v9, vcc, 0, v7, vcc
	v_mul_lo_u32 v10, s19, v4
	v_mul_lo_u32 v11, s18, v9
	v_mad_u64_u32 v[7:8], s[0:1], s18, v4, 0
	v_add3_u32 v8, v8, v11, v10
	v_sub_u32_e32 v10, v6, v8
	v_mov_b32_e32 v11, s19
	v_sub_co_u32_e32 v7, vcc, v5, v7
	v_subb_co_u32_e64 v10, s[0:1], v10, v11, vcc
	v_subrev_co_u32_e64 v11, s[0:1], s18, v7
	v_subbrev_co_u32_e64 v10, s[0:1], 0, v10, s[0:1]
	v_cmp_le_u32_e64 s[0:1], s19, v10
	v_cndmask_b32_e64 v12, 0, -1, s[0:1]
	v_cmp_le_u32_e64 s[0:1], s18, v11
	v_cndmask_b32_e64 v11, 0, -1, s[0:1]
	v_cmp_eq_u32_e64 s[0:1], s19, v10
	v_cndmask_b32_e64 v10, v12, v11, s[0:1]
	v_add_co_u32_e64 v11, s[0:1], 2, v4
	v_addc_co_u32_e64 v12, s[0:1], 0, v9, s[0:1]
	v_add_co_u32_e64 v13, s[0:1], 1, v4
	v_addc_co_u32_e64 v14, s[0:1], 0, v9, s[0:1]
	v_subb_co_u32_e32 v8, vcc, v6, v8, vcc
	v_cmp_ne_u32_e64 s[0:1], 0, v10
	v_cmp_le_u32_e32 vcc, s19, v8
	v_cndmask_b32_e64 v10, v14, v12, s[0:1]
	v_cndmask_b32_e64 v12, 0, -1, vcc
	v_cmp_le_u32_e32 vcc, s18, v7
	v_cndmask_b32_e64 v7, 0, -1, vcc
	v_cmp_eq_u32_e32 vcc, s19, v8
	v_cndmask_b32_e32 v7, v12, v7, vcc
	v_cmp_ne_u32_e32 vcc, 0, v7
	v_cndmask_b32_e64 v7, v13, v11, s[0:1]
	v_cndmask_b32_e32 v8, v9, v10, vcc
	v_cndmask_b32_e32 v7, v4, v7, vcc
.LBB0_4:                                ;   in Loop: Header=BB0_2 Depth=1
	s_andn2_saveexec_b64 s[0:1], s[20:21]
	s_cbranch_execz .LBB0_6
; %bb.5:                                ;   in Loop: Header=BB0_2 Depth=1
	v_cvt_f32_u32_e32 v4, s18
	s_sub_i32 s20, 0, s18
	v_rcp_iflag_f32_e32 v4, v4
	v_mul_f32_e32 v4, 0x4f7ffffe, v4
	v_cvt_u32_f32_e32 v4, v4
	v_mul_lo_u32 v7, s20, v4
	v_mul_hi_u32 v7, v4, v7
	v_add_u32_e32 v4, v4, v7
	v_mul_hi_u32 v4, v5, v4
	v_mul_lo_u32 v7, v4, s18
	v_add_u32_e32 v8, 1, v4
	v_sub_u32_e32 v7, v5, v7
	v_subrev_u32_e32 v9, s18, v7
	v_cmp_le_u32_e32 vcc, s18, v7
	v_cndmask_b32_e32 v7, v7, v9, vcc
	v_cndmask_b32_e32 v4, v4, v8, vcc
	v_add_u32_e32 v8, 1, v4
	v_cmp_le_u32_e32 vcc, s18, v7
	v_cndmask_b32_e32 v7, v4, v8, vcc
	v_mov_b32_e32 v8, v3
.LBB0_6:                                ;   in Loop: Header=BB0_2 Depth=1
	s_or_b64 exec, exec, s[0:1]
	v_mul_lo_u32 v4, v8, s18
	v_mul_lo_u32 v11, v7, s19
	v_mad_u64_u32 v[9:10], s[0:1], v7, s18, 0
	s_load_dwordx2 s[0:1], s[6:7], 0x0
	s_add_u32 s16, s16, 1
	v_add3_u32 v4, v10, v11, v4
	v_sub_co_u32_e32 v5, vcc, v5, v9
	v_subb_co_u32_e32 v4, vcc, v6, v4, vcc
	s_waitcnt lgkmcnt(0)
	v_mul_lo_u32 v4, s0, v4
	v_mul_lo_u32 v6, s1, v5
	v_mad_u64_u32 v[1:2], s[0:1], s0, v5, v[1:2]
	s_addc_u32 s17, s17, 0
	s_add_u32 s6, s6, 8
	v_add3_u32 v2, v6, v2, v4
	v_mov_b32_e32 v4, s10
	v_mov_b32_e32 v5, s11
	s_addc_u32 s7, s7, 0
	v_cmp_ge_u64_e32 vcc, s[16:17], v[4:5]
	s_add_u32 s14, s14, 8
	s_addc_u32 s15, s15, 0
	s_cbranch_vccnz .LBB0_9
; %bb.7:                                ;   in Loop: Header=BB0_2 Depth=1
	v_mov_b32_e32 v5, v7
	v_mov_b32_e32 v6, v8
	s_branch .LBB0_2
.LBB0_8:
	v_mov_b32_e32 v8, v6
	v_mov_b32_e32 v7, v5
.LBB0_9:
	s_lshl_b64 s[0:1], s[10:11], 3
	s_add_u32 s0, s2, s0
	s_addc_u32 s1, s3, s1
	s_load_dwordx2 s[2:3], s[0:1], 0x0
	s_load_dwordx2 s[6:7], s[4:5], 0x20
                                        ; implicit-def: $vgpr55
                                        ; implicit-def: $vgpr54
                                        ; implicit-def: $vgpr51
                                        ; implicit-def: $vgpr53
                                        ; implicit-def: $vgpr50
                                        ; implicit-def: $vgpr49
                                        ; implicit-def: $vgpr48
                                        ; implicit-def: $vgpr47
                                        ; implicit-def: $vgpr46
	s_waitcnt lgkmcnt(0)
	v_mad_u64_u32 v[1:2], s[0:1], s2, v7, v[1:2]
	s_mov_b32 s0, 0x5d1745e
	v_mul_lo_u32 v3, s2, v8
	v_mul_lo_u32 v4, s3, v7
	v_mul_hi_u32 v5, v0, s0
	v_cmp_gt_u64_e32 vcc, s[6:7], v[7:8]
	v_cmp_le_u64_e64 s[0:1], s[6:7], v[7:8]
	v_add3_u32 v2, v4, v2, v3
	v_mul_u32_u24_e32 v3, 44, v5
	v_sub_u32_e32 v40, v0, v3
	v_add_u32_e32 v44, 44, v40
	s_and_saveexec_b64 s[2:3], s[0:1]
	s_xor_b64 s[0:1], exec, s[2:3]
; %bb.10:
	v_add_u32_e32 v44, 44, v40
	v_add_u32_e32 v55, 0x58, v40
	v_add_u32_e32 v54, 0x84, v40
	v_add_u32_e32 v51, 0xb0, v40
	v_add_u32_e32 v53, 0xdc, v40
	v_add_u32_e32 v50, 0x108, v40
	v_add_u32_e32 v49, 0x134, v40
	v_add_u32_e32 v48, 0x160, v40
	v_add_u32_e32 v47, 0x18c, v40
	v_add_u32_e32 v46, 0x1b8, v40
; %bb.11:
	s_or_saveexec_b64 s[2:3], s[0:1]
	v_lshlrev_b64 v[42:43], 3, v[1:2]
	s_xor_b64 exec, exec, s[2:3]
	s_cbranch_execz .LBB0_13
; %bb.12:
	v_mov_b32_e32 v41, 0
	v_mov_b32_e32 v0, s13
	v_add_co_u32_e64 v36, s[0:1], s12, v42
	v_addc_co_u32_e64 v37, s[0:1], v0, v43, s[0:1]
	v_lshlrev_b64 v[0:1], 3, v[40:41]
	v_or_b32_e32 v26, 0x2c0, v40
	v_add_co_u32_e64 v0, s[0:1], v36, v0
	v_addc_co_u32_e64 v1, s[0:1], v37, v1, s[0:1]
	s_movk_i32 s0, 0x1000
	v_mov_b32_e32 v27, v41
	global_load_dwordx2 v[2:3], v[0:1], off
	global_load_dwordx2 v[4:5], v[0:1], off offset:352
	global_load_dwordx2 v[6:7], v[0:1], off offset:704
	;; [unrolled: 1-line block ×11, first 2 shown]
	v_add_co_u32_e64 v0, s[0:1], s0, v0
	v_lshlrev_b64 v[26:27], 3, v[26:27]
	v_addc_co_u32_e64 v1, s[0:1], 0, v1, s[0:1]
	v_add_co_u32_e64 v26, s[0:1], v36, v26
	v_addc_co_u32_e64 v27, s[0:1], v37, v27, s[0:1]
	global_load_dwordx2 v[28:29], v[0:1], off offset:128
	global_load_dwordx2 v[30:31], v[0:1], off offset:480
	;; [unrolled: 1-line block ×4, first 2 shown]
	global_load_dwordx2 v[36:37], v[26:27], off
	global_load_dwordx2 v[38:39], v[0:1], off offset:1888
	global_load_dwordx2 v[45:46], v[0:1], off offset:2240
	;; [unrolled: 1-line block ×4, first 2 shown]
	v_lshl_add_u32 v0, v40, 3, 0
	v_add_u32_e32 v55, 0x58, v40
	v_add_u32_e32 v54, 0x84, v40
	;; [unrolled: 1-line block ×11, first 2 shown]
	s_waitcnt vmcnt(19)
	ds_write2_b64 v0, v[2:3], v[4:5] offset1:44
	s_waitcnt vmcnt(17)
	ds_write2_b64 v0, v[6:7], v[8:9] offset0:88 offset1:132
	s_waitcnt vmcnt(15)
	ds_write2_b64 v0, v[10:11], v[12:13] offset0:176 offset1:220
	;; [unrolled: 2-line block ×9, first 2 shown]
	s_waitcnt vmcnt(0)
	ds_write_b64 v0, v[58:59] offset:7040
	v_add_u32_e32 v46, 0x1b8, v40
.LBB0_13:
	s_or_b64 exec, exec, s[2:3]
	v_lshlrev_b32_e32 v41, 3, v40
	v_add_u32_e32 v60, 0, v41
	s_waitcnt lgkmcnt(0)
	; wave barrier
	s_waitcnt lgkmcnt(0)
	v_add_u32_e32 v0, 0x800, v60
	ds_read2_b64 v[1:4], v60 offset1:44
	ds_read2_b64 v[5:8], v0 offset0:184 offset1:206
	v_add_u32_e32 v39, v60, v41
	v_lshl_add_u32 v68, v53, 4, 0
	v_lshl_add_u32 v74, v50, 4, 0
	;; [unrolled: 1-line block ×3, first 2 shown]
	s_waitcnt lgkmcnt(0)
	v_sub_f32_e32 v61, v1, v7
	v_sub_f32_e32 v62, v2, v8
	v_add_u32_e32 v7, 0xc00, v60
	v_fma_f32 v63, v1, 2.0, -v61
	v_fma_f32 v64, v2, 2.0, -v62
	v_add_u32_e32 v2, 0x1000, v60
	v_add_u32_e32 v1, 0x1800, v60
	ds_read2_b64 v[7:10], v7 offset0:122 offset1:166
	ds_read2_b64 v[11:14], v60 offset0:88 offset1:132
	;; [unrolled: 1-line block ×9, first 2 shown]
	s_waitcnt lgkmcnt(8)
	v_sub_f32_e32 v7, v3, v7
	v_sub_f32_e32 v8, v4, v8
	s_waitcnt lgkmcnt(0)
	; wave barrier
	s_waitcnt lgkmcnt(0)
	ds_write2_b64 v39, v[63:64], v[61:62] offset1:1
	v_fma_f32 v3, v3, 2.0, -v7
	v_fma_f32 v4, v4, 2.0, -v8
	v_lshl_add_u32 v39, v44, 4, 0
	ds_write2_b64 v39, v[3:4], v[7:8] offset1:1
	v_sub_f32_e32 v3, v11, v9
	v_sub_f32_e32 v4, v12, v10
	v_fma_f32 v7, v11, 2.0, -v3
	v_fma_f32 v8, v12, 2.0, -v4
	v_lshl_add_u32 v9, v55, 4, 0
	ds_write2_b64 v9, v[7:8], v[3:4] offset1:1
	v_sub_f32_e32 v3, v13, v15
	v_sub_f32_e32 v4, v14, v16
	;; [unrolled: 6-line block ×4, first 2 shown]
	v_sub_f32_e32 v3, v21, v23
	v_fma_f32 v8, v22, 2.0, -v4
	v_sub_f32_e32 v10, v28, v26
	v_fma_f32 v11, v27, 2.0, -v9
	v_sub_f32_e32 v13, v29, v31
	v_sub_f32_e32 v14, v30, v32
	;; [unrolled: 1-line block ×8, first 2 shown]
	v_fma_f32 v7, v21, 2.0, -v3
	v_fma_f32 v12, v28, 2.0, -v10
	;; [unrolled: 1-line block ×10, first 2 shown]
	v_lshl_add_u32 v62, v48, 4, 0
	v_lshl_add_u32 v70, v47, 4, 0
	v_cmp_gt_u32_e64 s[0:1], 22, v40
	ds_write2_b64 v68, v[7:8], v[3:4] offset1:1
	ds_write2_b64 v74, v[11:12], v[9:10] offset1:1
	;; [unrolled: 1-line block ×5, first 2 shown]
	s_and_saveexec_b64 s[2:3], s[0:1]
	s_cbranch_execz .LBB0_15
; %bb.14:
	v_lshl_add_u32 v3, v46, 4, 0
	ds_write2_b64 v3, v[20:21], v[22:23] offset1:1
.LBB0_15:
	s_or_b64 exec, exec, s[2:3]
	v_lshlrev_b32_e32 v72, 3, v53
	v_lshlrev_b32_e32 v73, 3, v50
	v_lshl_add_u32 v63, v51, 3, 0
	v_sub_u32_e32 v3, v68, v72
	v_sub_u32_e32 v4, v74, v73
	v_lshlrev_b32_e32 v84, 3, v49
	v_lshlrev_b32_e32 v45, 3, v48
	;; [unrolled: 1-line block ×3, first 2 shown]
	s_waitcnt lgkmcnt(0)
	; wave barrier
	s_waitcnt lgkmcnt(0)
	v_add_u32_e32 v5, 0x1400, v60
	v_sub_u32_e32 v6, v52, v84
	ds_read_b64 v[30:31], v63
	ds_read_b64 v[28:29], v3
	;; [unrolled: 1-line block ×4, first 2 shown]
	v_sub_u32_e32 v3, v62, v45
	v_sub_u32_e32 v4, v70, v85
	v_lshl_add_u32 v66, v44, 3, 0
	v_lshl_add_u32 v65, v55, 3, 0
	;; [unrolled: 1-line block ×3, first 2 shown]
	ds_read_b64 v[34:35], v3
	ds_read_b64 v[32:33], v4
	;; [unrolled: 1-line block ×6, first 2 shown]
	ds_read2_b64 v[16:19], v0 offset0:206 offset1:250
	ds_read2_b64 v[12:15], v2 offset0:38 offset1:82
	;; [unrolled: 1-line block ×5, first 2 shown]
	v_lshlrev_b32_e32 v79, 1, v44
	v_lshlrev_b32_e32 v78, 1, v55
	;; [unrolled: 1-line block ×9, first 2 shown]
	v_lshl_add_u32 v61, v46, 3, 0
	s_and_saveexec_b64 s[2:3], s[0:1]
	s_cbranch_execz .LBB0_17
; %bb.16:
	ds_read_b64 v[20:21], v61
	ds_read_b64 v[22:23], v60 offset:7216
.LBB0_17:
	s_or_b64 exec, exec, s[2:3]
	v_and_b32_e32 v83, 1, v40
	v_lshlrev_b32_e32 v75, 3, v83
	global_load_dwordx2 v[86:87], v75, s[8:9]
	v_sub_u32_e32 v75, 0, v72
	v_sub_u32_e32 v72, 0, v85
	;; [unrolled: 1-line block ×4, first 2 shown]
	v_lshlrev_b32_e32 v84, 1, v40
	s_movk_i32 s2, 0x7c
	v_and_or_b32 v84, v84, s2, v83
	v_lshl_add_u32 v84, v84, 3, 0
	s_movk_i32 s2, 0xfc
	s_waitcnt lgkmcnt(0)
	; wave barrier
	s_waitcnt lgkmcnt(0)
	s_movk_i32 s4, 0x3fc
	s_waitcnt vmcnt(0)
	v_mul_f32_e32 v85, v87, v17
	v_mul_f32_e32 v88, v87, v16
	;; [unrolled: 1-line block ×4, first 2 shown]
	v_fmac_f32_e32 v85, v86, v16
	v_fma_f32 v16, v86, v17, -v88
	v_mul_f32_e32 v89, v87, v19
	v_mul_f32_e32 v90, v87, v18
	;; [unrolled: 1-line block ×18, first 2 shown]
	v_fmac_f32_e32 v103, v86, v0
	v_fma_f32 v88, v86, v1, -v104
	v_sub_f32_e32 v0, v58, v85
	v_sub_f32_e32 v1, v59, v16
	v_fmac_f32_e32 v89, v86, v18
	v_fma_f32 v17, v86, v19, -v90
	v_fmac_f32_e32 v105, v86, v2
	v_fma_f32 v2, v86, v3, -v106
	;; [unrolled: 2-line block ×3, first 2 shown]
	v_fma_f32 v22, v58, 2.0, -v0
	v_fma_f32 v23, v59, 2.0, -v1
	v_fmac_f32_e32 v99, v86, v4
	v_fma_f32 v18, v86, v5, -v100
	v_sub_f32_e32 v4, v56, v89
	v_sub_f32_e32 v5, v57, v17
	ds_write2_b64 v84, v[22:23], v[0:1] offset1:2
	v_and_or_b32 v0, v79, s2, v83
	v_fmac_f32_e32 v91, v86, v12
	v_fma_f32 v12, v86, v13, -v92
	v_fma_f32 v56, v56, 2.0, -v4
	v_fma_f32 v57, v57, 2.0, -v5
	v_lshl_add_u32 v0, v0, 3, 0
	s_movk_i32 s2, 0x1fc
	v_fmac_f32_e32 v101, v86, v6
	v_fma_f32 v19, v86, v7, -v102
	v_sub_f32_e32 v6, v38, v91
	v_sub_f32_e32 v7, v39, v12
	ds_write2_b64 v0, v[56:57], v[4:5] offset1:2
	v_and_or_b32 v0, v78, s2, v83
	v_fmac_f32_e32 v93, v86, v14
	v_fma_f32 v13, v86, v15, -v94
	v_fma_f32 v38, v38, 2.0, -v6
	v_fma_f32 v39, v39, 2.0, -v7
	v_lshl_add_u32 v0, v0, 3, 0
	v_fmac_f32_e32 v95, v86, v8
	v_fma_f32 v14, v86, v9, -v96
	v_sub_f32_e32 v8, v36, v93
	v_sub_f32_e32 v9, v37, v13
	ds_write2_b64 v0, v[38:39], v[6:7] offset1:2
	v_and_or_b32 v0, v77, s2, v83
	v_fma_f32 v36, v36, 2.0, -v8
	v_fma_f32 v37, v37, 2.0, -v9
	v_lshl_add_u32 v0, v0, 3, 0
	v_fmac_f32_e32 v97, v86, v10
	v_fma_f32 v15, v86, v11, -v98
	v_sub_f32_e32 v10, v30, v95
	v_sub_f32_e32 v11, v31, v14
	ds_write2_b64 v0, v[36:37], v[8:9] offset1:2
	v_and_or_b32 v0, v71, s2, v83
	v_fma_f32 v30, v30, 2.0, -v10
	v_fma_f32 v31, v31, 2.0, -v11
	v_lshl_add_u32 v0, v0, 3, 0
	v_sub_f32_e32 v12, v28, v97
	v_sub_f32_e32 v13, v29, v15
	ds_write2_b64 v0, v[30:31], v[10:11] offset1:2
	v_and_or_b32 v0, v69, s4, v83
	v_fma_f32 v28, v28, 2.0, -v12
	v_fma_f32 v29, v29, 2.0, -v13
	v_lshl_add_u32 v0, v0, 3, 0
	s_movk_i32 s2, 0x2fc
	v_sub_f32_e32 v14, v26, v99
	v_sub_f32_e32 v15, v27, v18
	ds_write2_b64 v0, v[28:29], v[12:13] offset1:2
	v_and_or_b32 v0, v67, s2, v83
	v_fma_f32 v26, v26, 2.0, -v14
	v_fma_f32 v27, v27, 2.0, -v15
	v_lshl_add_u32 v0, v0, 3, 0
	v_sub_f32_e32 v16, v24, v101
	v_sub_f32_e32 v17, v25, v19
	ds_write2_b64 v0, v[26:27], v[14:15] offset1:2
	v_and_or_b32 v0, v82, s2, v83
	v_fma_f32 v24, v24, 2.0, -v16
	v_fma_f32 v25, v25, 2.0, -v17
	v_lshl_add_u32 v0, v0, 3, 0
	;; [unrolled: 7-line block ×3, first 2 shown]
	v_sub_f32_e32 v58, v32, v105
	v_sub_f32_e32 v59, v33, v2
	ds_write2_b64 v0, v[34:35], v[18:19] offset1:2
	v_and_or_b32 v0, v80, s4, v83
	v_fma_f32 v32, v32, 2.0, -v58
	v_fma_f32 v33, v33, 2.0, -v59
	v_sub_f32_e32 v2, v20, v107
	v_sub_f32_e32 v3, v21, v3
	v_lshl_add_u32 v0, v0, 3, 0
	ds_write2_b64 v0, v[32:33], v[58:59] offset1:2
	s_and_saveexec_b64 s[2:3], s[0:1]
	s_cbranch_execz .LBB0_19
; %bb.18:
	v_lshlrev_b32_e32 v4, 1, v46
	v_and_or_b32 v4, v4, s4, v83
	v_fma_f32 v1, v21, 2.0, -v3
	v_fma_f32 v0, v20, 2.0, -v2
	v_lshl_add_u32 v4, v4, 3, 0
	ds_write2_b64 v4, v[0:1], v[2:3] offset1:2
.LBB0_19:
	s_or_b64 exec, exec, s[2:3]
	v_and_b32_e32 v78, 3, v40
	v_lshlrev_b32_e32 v0, 4, v78
	s_waitcnt lgkmcnt(0)
	; wave barrier
	s_waitcnt lgkmcnt(0)
	global_load_dwordx4 v[4:7], v0, s[8:9] offset:16
	ds_read_b64 v[0:1], v60
	v_add_u32_e32 v67, v52, v73
	v_add_u32_e32 v52, 0x1000, v60
	;; [unrolled: 1-line block ×3, first 2 shown]
	ds_read_b64 v[32:33], v65
	ds_read_b64 v[34:35], v64
	v_add_u32_e32 v73, 0x1800, v60
	v_add_u32_e32 v69, v68, v75
	;; [unrolled: 1-line block ×3, first 2 shown]
	ds_read_b64 v[36:37], v66
	ds_read_b64 v[38:39], v60 offset:7040
	ds_read2_b64 v[8:11], v52 offset0:104 offset1:148
	ds_read2_b64 v[12:15], v71 offset0:96 offset1:140
	;; [unrolled: 1-line block ×4, first 2 shown]
	ds_read_b64 v[56:57], v69
	ds_read_b64 v[58:59], v67
	;; [unrolled: 1-line block ×3, first 2 shown]
	ds_read2_b64 v[24:27], v73 offset0:24 offset1:68
	ds_read2_b64 v[28:31], v52 offset0:16 offset1:60
	ds_read_b64 v[76:77], v68
	s_waitcnt lgkmcnt(0)
	; wave barrier
	s_waitcnt lgkmcnt(0)
	s_movk_i32 s2, 0xab
	v_add_u32_e32 v70, v70, v72
	v_add_u32_e32 v72, 0xc00, v60
	s_mov_b32 s3, 0x3f3bfb3b
	s_mov_b32 s4, 0xbf3bfb3b
	;; [unrolled: 1-line block ×3, first 2 shown]
	s_waitcnt vmcnt(0)
	v_mul_f32_e32 v79, v5, v59
	v_mul_f32_e32 v81, v7, v9
	;; [unrolled: 1-line block ×15, first 2 shown]
	v_fmac_f32_e32 v79, v4, v58
	v_fmac_f32_e32 v81, v6, v8
	v_mul_f32_e32 v82, v7, v8
	v_fma_f32 v31, v31, v4, -v5
	v_add_f32_e32 v5, v79, v81
	v_mul_f32_e32 v85, v7, v11
	v_mul_f32_e32 v86, v7, v10
	;; [unrolled: 1-line block ×12, first 2 shown]
	v_fma_f32 v58, v4, v59, -v80
	v_fma_f32 v8, v6, v9, -v82
	v_fmac_f32_e32 v83, v4, v12
	v_fma_f32 v12, v4, v13, -v84
	v_fmac_f32_e32 v87, v14, v4
	;; [unrolled: 2-line block ×6, first 2 shown]
	v_add_f32_e32 v4, v0, v79
	v_fma_f32 v0, -0.5, v5, v0
	v_fmac_f32_e32 v85, v6, v10
	v_fma_f32 v11, v6, v11, -v86
	v_fmac_f32_e32 v89, v16, v6
	v_fma_f32 v16, v17, v6, -v90
	;; [unrolled: 2-line block ×6, first 2 shown]
	v_sub_f32_e32 v5, v58, v8
	v_mov_b32_e32 v6, v0
	v_add_f32_e32 v7, v58, v8
	v_fmac_f32_e32 v6, 0xbf5db3d7, v5
	v_fmac_f32_e32 v0, 0x3f5db3d7, v5
	v_add_f32_e32 v5, v1, v58
	v_fmac_f32_e32 v1, -0.5, v7
	v_add_f32_e32 v5, v5, v8
	v_sub_f32_e32 v8, v79, v81
	v_mov_b32_e32 v7, v1
	v_add_f32_e32 v9, v83, v85
	v_fmac_f32_e32 v7, 0x3f5db3d7, v8
	v_fmac_f32_e32 v1, 0xbf5db3d7, v8
	v_add_f32_e32 v8, v36, v83
	v_fma_f32 v36, -0.5, v9, v36
	v_sub_f32_e32 v9, v12, v11
	v_mov_b32_e32 v10, v36
	v_fmac_f32_e32 v10, 0xbf5db3d7, v9
	v_fmac_f32_e32 v36, 0x3f5db3d7, v9
	v_add_f32_e32 v9, v37, v12
	v_add_f32_e32 v9, v9, v11
	v_add_f32_e32 v11, v12, v11
	v_fmac_f32_e32 v37, -0.5, v11
	v_sub_f32_e32 v12, v83, v85
	v_mov_b32_e32 v11, v37
	v_add_f32_e32 v13, v87, v89
	v_fmac_f32_e32 v11, 0x3f5db3d7, v12
	v_fmac_f32_e32 v37, 0xbf5db3d7, v12
	v_add_f32_e32 v12, v32, v87
	v_fma_f32 v32, -0.5, v13, v32
	v_sub_f32_e32 v13, v15, v16
	v_mov_b32_e32 v14, v32
	v_fmac_f32_e32 v14, 0xbf5db3d7, v13
	v_fmac_f32_e32 v32, 0x3f5db3d7, v13
	v_add_f32_e32 v13, v33, v15
	v_add_f32_e32 v15, v15, v16
	v_fmac_f32_e32 v33, -0.5, v15
	v_add_f32_e32 v13, v13, v16
	v_sub_f32_e32 v16, v87, v89
	v_mov_b32_e32 v15, v33
	v_add_f32_e32 v17, v91, v93
	v_fmac_f32_e32 v15, 0x3f5db3d7, v16
	v_fmac_f32_e32 v33, 0xbf5db3d7, v16
	v_add_f32_e32 v16, v34, v91
	v_fma_f32 v34, -0.5, v17, v34
	v_sub_f32_e32 v17, v20, v19
	v_mov_b32_e32 v18, v34
	v_fmac_f32_e32 v18, 0xbf5db3d7, v17
	v_fmac_f32_e32 v34, 0x3f5db3d7, v17
	v_add_f32_e32 v17, v35, v20
	v_add_f32_e32 v17, v17, v19
	v_add_f32_e32 v19, v20, v19
	v_fmac_f32_e32 v35, -0.5, v19
	v_sub_f32_e32 v20, v91, v93
	v_mov_b32_e32 v19, v35
	v_add_f32_e32 v21, v95, v97
	v_fmac_f32_e32 v19, 0x3f5db3d7, v20
	v_fmac_f32_e32 v35, 0xbf5db3d7, v20
	v_add_f32_e32 v20, v74, v95
	v_fma_f32 v74, -0.5, v21, v74
	v_sub_f32_e32 v21, v23, v24
	v_mov_b32_e32 v22, v74
	v_fmac_f32_e32 v22, 0xbf5db3d7, v21
	v_fmac_f32_e32 v74, 0x3f5db3d7, v21
	v_add_f32_e32 v21, v75, v23
	;; [unrolled: 30-line block ×3, first 2 shown]
	v_add_f32_e32 v31, v31, v38
	v_fmac_f32_e32 v77, -0.5, v31
	v_add_f32_e32 v29, v29, v38
	v_sub_f32_e32 v38, v103, v104
	v_mov_b32_e32 v31, v77
	v_fmac_f32_e32 v31, 0x3f5db3d7, v38
	v_fmac_f32_e32 v77, 0xbf5db3d7, v38
	v_lshrrev_b32_e32 v38, 2, v40
	v_mul_u32_u24_e32 v38, 12, v38
	v_or_b32_e32 v38, v38, v78
	v_lshrrev_b32_e32 v39, 2, v44
	v_add_f32_e32 v4, v4, v81
	v_mul_lo_u32 v39, v39, 12
	v_lshl_add_u32 v38, v38, 3, 0
	ds_write2_b64 v38, v[4:5], v[6:7] offset1:4
	ds_write_b64 v38, v[0:1] offset:64
	v_lshrrev_b32_e32 v1, 2, v55
	v_mul_lo_u32 v1, v1, 12
	v_or_b32_e32 v0, v39, v78
	v_add_f32_e32 v8, v8, v85
	v_lshl_add_u32 v0, v0, 3, 0
	ds_write2_b64 v0, v[8:9], v[10:11] offset1:4
	ds_write_b64 v0, v[36:37] offset:64
	v_or_b32_e32 v0, v1, v78
	v_lshrrev_b32_e32 v1, 2, v54
	v_mul_lo_u32 v1, v1, 12
	v_add_f32_e32 v12, v12, v89
	v_lshl_add_u32 v0, v0, 3, 0
	ds_write2_b64 v0, v[12:13], v[14:15] offset1:4
	ds_write_b64 v0, v[32:33] offset:64
	v_or_b32_e32 v0, v1, v78
	v_lshrrev_b32_e32 v1, 2, v51
	v_mul_lo_u32 v1, v1, 12
	v_add_f32_e32 v16, v16, v93
	v_lshl_add_u32 v0, v0, 3, 0
	ds_write2_b64 v0, v[16:17], v[18:19] offset1:4
	ds_write_b64 v0, v[34:35] offset:64
	v_or_b32_e32 v0, v1, v78
	v_lshrrev_b32_e32 v1, 2, v53
	v_mul_lo_u32 v1, v1, 12
	v_add_f32_e32 v20, v20, v97
	v_lshl_add_u32 v0, v0, 3, 0
	ds_write2_b64 v0, v[20:21], v[22:23] offset1:4
	ds_write_b64 v0, v[74:75] offset:64
	v_or_b32_e32 v0, v1, v78
	v_lshrrev_b32_e32 v1, 2, v50
	v_mul_lo_u32 v1, v1, 12
	v_add_f32_e32 v24, v24, v101
	v_lshl_add_u32 v0, v0, 3, 0
	ds_write2_b64 v0, v[24:25], v[26:27] offset1:4
	ds_write_b64 v0, v[56:57] offset:64
	v_or_b32_e32 v0, v1, v78
	v_add_f32_e32 v28, v28, v104
	v_lshl_add_u32 v0, v0, 3, 0
	ds_write2_b64 v0, v[28:29], v[30:31] offset1:4
	ds_write_b64 v0, v[76:77] offset:64
	v_mul_lo_u16_sdwa v0, v40, s2 dst_sel:DWORD dst_unused:UNUSED_PAD src0_sel:BYTE_0 src1_sel:DWORD
	v_lshrrev_b16_e32 v110, 11, v0
	v_mul_lo_u16_e32 v0, 12, v110
	v_sub_u16_e32 v111, v40, v0
	v_mov_b32_e32 v0, 6
	v_mul_u32_u24_sdwa v1, v111, v0 dst_sel:DWORD dst_unused:UNUSED_PAD src0_sel:BYTE_0 src1_sel:DWORD
	v_lshlrev_b32_e32 v1, 3, v1
	s_waitcnt lgkmcnt(0)
	; wave barrier
	s_waitcnt lgkmcnt(0)
	global_load_dwordx4 v[4:7], v1, s[8:9] offset:80
	global_load_dwordx4 v[8:11], v1, s[8:9] offset:96
	;; [unrolled: 1-line block ×3, first 2 shown]
	v_mul_lo_u16_sdwa v1, v44, s2 dst_sel:DWORD dst_unused:UNUSED_PAD src0_sel:BYTE_0 src1_sel:DWORD
	v_lshrrev_b16_e32 v112, 11, v1
	v_mul_lo_u16_e32 v1, 12, v112
	v_sub_u16_e32 v113, v44, v1
	v_mul_u32_u24_sdwa v1, v113, v0 dst_sel:DWORD dst_unused:UNUSED_PAD src0_sel:BYTE_0 src1_sel:DWORD
	v_lshlrev_b32_e32 v1, 3, v1
	global_load_dwordx4 v[16:19], v1, s[8:9] offset:80
	global_load_dwordx4 v[20:23], v1, s[8:9] offset:96
	;; [unrolled: 1-line block ×3, first 2 shown]
	v_mul_lo_u16_sdwa v1, v55, s2 dst_sel:DWORD dst_unused:UNUSED_PAD src0_sel:BYTE_0 src1_sel:DWORD
	v_lshrrev_b16_e32 v114, 11, v1
	v_mul_lo_u16_e32 v1, 12, v114
	v_sub_u16_e32 v115, v55, v1
	v_mul_u32_u24_sdwa v0, v115, v0 dst_sel:DWORD dst_unused:UNUSED_PAD src0_sel:BYTE_0 src1_sel:DWORD
	v_lshlrev_b32_e32 v56, 3, v0
	global_load_dwordx4 v[28:31], v56, s[8:9] offset:80
	global_load_dwordx4 v[32:35], v56, s[8:9] offset:96
	ds_read2_b64 v[36:39], v60 offset1:176
	ds_read_b64 v[0:1], v68
	global_load_dwordx4 v[56:59], v56, s[8:9] offset:112
	ds_read_b64 v[102:103], v70
	v_add_u32_e32 v82, 0x1400, v60
	v_add_u32_e32 v86, 0x400, v60
	ds_read2_b64 v[74:77], v72 offset0:100 offset1:144
	ds_read2_b64 v[78:81], v52 offset0:148 offset1:192
	;; [unrolled: 1-line block ×3, first 2 shown]
	ds_read_b64 v[104:105], v66
	ds_read2_b64 v[86:89], v86 offset0:92 offset1:180
	ds_read_b64 v[106:107], v64
	ds_read2_b64 v[90:93], v71 offset0:96 offset1:184
	ds_read2_b64 v[94:97], v52 offset0:60 offset1:104
	;; [unrolled: 1-line block ×3, first 2 shown]
	ds_read_b64 v[108:109], v65
	s_mov_b32 s2, 0xbf5ff5aa
	s_waitcnt lgkmcnt(0)
	; wave barrier
	s_waitcnt vmcnt(8) lgkmcnt(0)
	v_mul_f32_e32 v116, v5, v107
	v_mul_f32_e32 v5, v5, v106
	v_fmac_f32_e32 v116, v4, v106
	v_fma_f32 v4, v4, v107, -v5
	v_mul_f32_e32 v5, v7, v1
	v_fmac_f32_e32 v5, v6, v0
	v_mul_f32_e32 v0, v7, v0
	v_fma_f32 v0, v6, v1, -v0
	s_waitcnt vmcnt(7)
	v_mul_f32_e32 v1, v9, v103
	v_mul_f32_e32 v6, v9, v102
	v_fmac_f32_e32 v1, v8, v102
	v_fma_f32 v6, v8, v103, -v6
	v_mul_f32_e32 v7, v11, v77
	v_mul_f32_e32 v8, v11, v76
	v_fmac_f32_e32 v7, v10, v76
	v_fma_f32 v8, v10, v77, -v8
	s_waitcnt vmcnt(6)
	v_mul_f32_e32 v9, v79, v13
	v_mul_f32_e32 v10, v78, v13
	v_fmac_f32_e32 v9, v78, v12
	v_fma_f32 v10, v79, v12, -v10
	v_mul_f32_e32 v11, v85, v15
	v_mul_f32_e32 v12, v84, v15
	v_fmac_f32_e32 v11, v84, v14
	;; [unrolled: 9-line block ×3, first 2 shown]
	v_fma_f32 v16, v89, v18, -v16
	s_waitcnt vmcnt(4)
	v_mul_f32_e32 v17, v93, v21
	v_mul_f32_e32 v18, v92, v21
	v_fmac_f32_e32 v17, v92, v20
	v_fma_f32 v18, v93, v20, -v18
	v_mul_f32_e32 v20, v94, v23
	v_fma_f32 v38, v95, v22, -v20
	s_waitcnt vmcnt(3)
	v_mul_f32_e32 v20, v80, v25
	v_fma_f32 v76, v81, v24, -v20
	v_mul_f32_e32 v20, v98, v27
	v_mul_f32_e32 v39, v81, v25
	v_fma_f32 v78, v99, v26, -v20
	s_waitcnt vmcnt(2)
	v_mul_f32_e32 v20, v86, v29
	v_fmac_f32_e32 v39, v80, v24
	v_fma_f32 v80, v87, v28, -v20
	v_mul_f32_e32 v20, v90, v31
	v_fma_f32 v84, v91, v30, -v20
	s_waitcnt vmcnt(1)
	v_mul_f32_e32 v85, v75, v33
	v_mul_f32_e32 v20, v74, v33
	;; [unrolled: 1-line block ×3, first 2 shown]
	v_fmac_f32_e32 v85, v74, v32
	v_fma_f32 v74, v75, v32, -v20
	v_mul_f32_e32 v20, v96, v35
	v_fmac_f32_e32 v79, v86, v28
	v_fma_f32 v86, v97, v34, -v20
	s_waitcnt vmcnt(0)
	v_mul_f32_e32 v87, v83, v57
	v_mul_f32_e32 v20, v82, v57
	v_fmac_f32_e32 v87, v82, v56
	v_fma_f32 v82, v83, v56, -v20
	v_mul_f32_e32 v20, v100, v59
	v_mul_f32_e32 v19, v95, v23
	v_fma_f32 v88, v101, v58, -v20
	v_add_f32_e32 v20, v116, v11
	v_add_f32_e32 v21, v4, v12
	v_sub_f32_e32 v4, v4, v12
	v_add_f32_e32 v12, v5, v9
	v_fmac_f32_e32 v19, v94, v22
	v_add_f32_e32 v22, v0, v10
	v_sub_f32_e32 v5, v5, v9
	v_add_f32_e32 v9, v1, v7
	v_sub_f32_e32 v1, v7, v1
	v_add_f32_e32 v7, v12, v20
	v_mul_f32_e32 v77, v99, v27
	v_sub_f32_e32 v11, v116, v11
	v_sub_f32_e32 v0, v0, v10
	v_add_f32_e32 v10, v6, v8
	v_sub_f32_e32 v6, v8, v6
	v_add_f32_e32 v8, v22, v21
	v_sub_f32_e32 v23, v12, v20
	v_sub_f32_e32 v25, v20, v9
	v_add_f32_e32 v20, v1, v5
	v_add_f32_e32 v7, v9, v7
	v_fmac_f32_e32 v77, v98, v26
	v_sub_f32_e32 v24, v22, v21
	v_sub_f32_e32 v26, v21, v10
	v_sub_f32_e32 v12, v9, v12
	v_add_f32_e32 v21, v6, v0
	v_add_f32_e32 v8, v10, v8
	;; [unrolled: 1-line block ×4, first 2 shown]
	v_sub_f32_e32 v22, v10, v22
	v_sub_f32_e32 v27, v1, v5
	;; [unrolled: 1-line block ×5, first 2 shown]
	v_add_f32_e32 v4, v21, v4
	v_add_f32_e32 v21, v8, v37
	v_mov_b32_e32 v29, v20
	v_sub_f32_e32 v1, v11, v1
	v_sub_f32_e32 v5, v5, v11
	v_mul_f32_e32 v10, 0x3f4a47b2, v25
	v_mul_f32_e32 v11, 0x3f4a47b2, v26
	;; [unrolled: 1-line block ×7, first 2 shown]
	v_fmac_f32_e32 v29, 0xbf955555, v7
	v_mov_b32_e32 v7, v21
	v_mul_f32_e32 v81, v91, v31
	v_mul_f32_e32 v27, 0xbf5ff5aa, v5
	v_fmac_f32_e32 v7, 0xbf955555, v8
	v_fma_f32 v8, v23, s3, -v25
	v_fma_f32 v25, v24, s3, -v26
	;; [unrolled: 1-line block ×5, first 2 shown]
	v_fmac_f32_e32 v32, 0xbeae86e6, v6
	v_fma_f32 v6, v6, s5, -v28
	v_fmac_f32_e32 v81, v90, v30
	v_fmac_f32_e32 v10, 0x3d64c772, v12
	v_fma_f32 v12, v24, s4, -v11
	v_fmac_f32_e32 v11, 0x3d64c772, v22
	v_fmac_f32_e32 v33, 0xbeae86e6, v1
	v_fma_f32 v1, v1, s5, -v27
	v_add_f32_e32 v8, v8, v29
	v_add_f32_e32 v30, v25, v7
	;; [unrolled: 1-line block ×3, first 2 shown]
	v_fmac_f32_e32 v5, 0xbee1c552, v9
	v_fmac_f32_e32 v0, 0xbee1c552, v4
	;; [unrolled: 1-line block ×3, first 2 shown]
	v_add_f32_e32 v10, v10, v29
	v_add_f32_e32 v11, v11, v7
	;; [unrolled: 1-line block ×3, first 2 shown]
	v_fmac_f32_e32 v32, 0xbee1c552, v4
	v_fmac_f32_e32 v1, 0xbee1c552, v9
	v_add_f32_e32 v24, v6, v31
	v_sub_f32_e32 v26, v8, v0
	v_add_f32_e32 v27, v5, v30
	v_add_f32_e32 v28, v0, v8
	v_sub_f32_e32 v29, v30, v5
	v_sub_f32_e32 v30, v31, v6
	v_add_f32_e32 v0, v13, v77
	v_add_f32_e32 v6, v15, v39
	v_fmac_f32_e32 v33, 0xbee1c552, v9
	v_add_f32_e32 v22, v32, v10
	v_sub_f32_e32 v25, v7, v1
	v_add_f32_e32 v31, v1, v7
	v_sub_f32_e32 v32, v10, v32
	;; [unrolled: 2-line block ×3, first 2 shown]
	v_add_f32_e32 v7, v16, v76
	v_add_f32_e32 v10, v17, v19
	;; [unrolled: 1-line block ×3, first 2 shown]
	v_mul_f32_e32 v75, v97, v35
	v_sub_f32_e32 v23, v11, v33
	v_add_f32_e32 v33, v33, v11
	v_sub_f32_e32 v8, v15, v39
	v_sub_f32_e32 v9, v16, v76
	v_add_f32_e32 v11, v18, v38
	v_add_f32_e32 v15, v7, v1
	v_sub_f32_e32 v16, v6, v0
	v_sub_f32_e32 v0, v0, v10
	;; [unrolled: 1-line block ×3, first 2 shown]
	v_add_f32_e32 v10, v10, v14
	v_fmac_f32_e32 v75, v96, v34
	v_sub_f32_e32 v4, v13, v77
	v_sub_f32_e32 v12, v19, v17
	;; [unrolled: 1-line block ×6, first 2 shown]
	v_add_f32_e32 v11, v11, v15
	v_add_f32_e32 v34, v10, v104
	;; [unrolled: 1-line block ×4, first 2 shown]
	v_sub_f32_e32 v36, v12, v8
	v_sub_f32_e32 v37, v13, v9
	;; [unrolled: 1-line block ×3, first 2 shown]
	v_add_f32_e32 v35, v11, v105
	v_mov_b32_e32 v38, v34
	v_sub_f32_e32 v12, v4, v12
	v_sub_f32_e32 v13, v5, v13
	;; [unrolled: 1-line block ×3, first 2 shown]
	v_add_f32_e32 v4, v18, v4
	v_add_f32_e32 v5, v19, v5
	v_mul_f32_e32 v0, 0x3f4a47b2, v0
	v_mul_f32_e32 v1, 0x3f4a47b2, v1
	v_mul_f32_e32 v14, 0x3d64c772, v6
	v_mul_f32_e32 v15, 0x3d64c772, v7
	v_mul_f32_e32 v18, 0x3f08b237, v36
	v_mul_f32_e32 v19, 0x3f08b237, v37
	v_mul_f32_e32 v36, 0xbf5ff5aa, v8
	v_fmac_f32_e32 v38, 0xbf955555, v10
	v_mov_b32_e32 v10, v35
	v_mul_f32_e32 v83, v101, v59
	v_mul_f32_e32 v37, 0xbf5ff5aa, v9
	v_fmac_f32_e32 v10, 0xbf955555, v11
	v_fma_f32 v11, v16, s3, -v14
	v_fma_f32 v14, v17, s3, -v15
	;; [unrolled: 1-line block ×3, first 2 shown]
	v_fmac_f32_e32 v0, 0x3d64c772, v6
	v_fma_f32 v6, v17, s4, -v1
	v_fmac_f32_e32 v1, 0x3d64c772, v7
	v_fma_f32 v7, v8, s2, -v18
	v_fma_f32 v8, v9, s2, -v19
	v_fmac_f32_e32 v19, 0xbeae86e6, v13
	v_fma_f32 v9, v12, s5, -v36
	v_fmac_f32_e32 v83, v100, v58
	v_fmac_f32_e32 v18, 0xbeae86e6, v12
	v_fma_f32 v12, v13, s5, -v37
	v_add_f32_e32 v0, v0, v38
	v_add_f32_e32 v6, v6, v10
	v_fmac_f32_e32 v19, 0xbee1c552, v5
	v_fmac_f32_e32 v9, 0xbee1c552, v4
	v_add_f32_e32 v1, v1, v10
	v_add_f32_e32 v11, v11, v38
	;; [unrolled: 1-line block ×4, first 2 shown]
	v_fmac_f32_e32 v18, 0xbee1c552, v4
	v_fmac_f32_e32 v7, 0xbee1c552, v4
	;; [unrolled: 1-line block ×4, first 2 shown]
	v_add_f32_e32 v36, v19, v0
	v_sub_f32_e32 v39, v6, v9
	v_add_f32_e32 v5, v9, v6
	v_sub_f32_e32 v6, v0, v19
	v_add_f32_e32 v0, v79, v83
	v_add_f32_e32 v10, v81, v87
	v_sub_f32_e32 v37, v1, v18
	v_add_f32_e32 v38, v12, v14
	v_sub_f32_e32 v58, v11, v8
	v_add_f32_e32 v59, v7, v13
	v_add_f32_e32 v56, v8, v11
	v_sub_f32_e32 v57, v13, v7
	v_sub_f32_e32 v4, v14, v12
	v_add_f32_e32 v7, v18, v1
	v_add_f32_e32 v1, v80, v88
	;; [unrolled: 1-line block ×3, first 2 shown]
	v_sub_f32_e32 v12, v81, v87
	v_add_f32_e32 v14, v85, v75
	v_sub_f32_e32 v16, v75, v85
	v_add_f32_e32 v18, v10, v0
	v_sub_f32_e32 v8, v79, v83
	v_sub_f32_e32 v13, v84, v82
	v_add_f32_e32 v15, v74, v86
	v_sub_f32_e32 v17, v86, v74
	v_add_f32_e32 v19, v11, v1
	v_sub_f32_e32 v74, v10, v0
	v_sub_f32_e32 v0, v0, v14
	;; [unrolled: 1-line block ×3, first 2 shown]
	v_add_f32_e32 v76, v16, v12
	v_add_f32_e32 v14, v14, v18
	v_sub_f32_e32 v9, v80, v88
	v_sub_f32_e32 v75, v11, v1
	;; [unrolled: 1-line block ×4, first 2 shown]
	v_add_f32_e32 v77, v17, v13
	v_sub_f32_e32 v78, v16, v12
	v_sub_f32_e32 v16, v8, v16
	;; [unrolled: 1-line block ×3, first 2 shown]
	v_add_f32_e32 v15, v15, v19
	v_add_f32_e32 v18, v76, v8
	;; [unrolled: 1-line block ×3, first 2 shown]
	v_sub_f32_e32 v79, v17, v13
	v_sub_f32_e32 v17, v9, v17
	;; [unrolled: 1-line block ×3, first 2 shown]
	v_add_f32_e32 v19, v77, v9
	v_add_f32_e32 v9, v15, v109
	v_mov_b32_e32 v82, v8
	v_mul_f32_e32 v0, 0x3f4a47b2, v0
	v_mul_f32_e32 v1, 0x3f4a47b2, v1
	;; [unrolled: 1-line block ×5, first 2 shown]
	v_fmac_f32_e32 v82, 0xbf955555, v14
	v_mov_b32_e32 v14, v9
	v_mul_f32_e32 v79, 0x3f08b237, v79
	v_mul_f32_e32 v80, 0xbf5ff5aa, v12
	;; [unrolled: 1-line block ×3, first 2 shown]
	v_fmac_f32_e32 v14, 0xbf955555, v15
	v_fma_f32 v15, v74, s3, -v76
	v_fma_f32 v76, v75, s3, -v77
	;; [unrolled: 1-line block ×3, first 2 shown]
	v_fmac_f32_e32 v0, 0x3d64c772, v10
	v_fma_f32 v10, v75, s4, -v1
	v_fma_f32 v75, v12, s2, -v78
	;; [unrolled: 1-line block ×3, first 2 shown]
	v_fmac_f32_e32 v79, 0xbeae86e6, v17
	v_fma_f32 v80, v16, s5, -v80
	v_fma_f32 v81, v17, s5, -v81
	v_add_f32_e32 v17, v76, v14
	v_fmac_f32_e32 v75, 0xbee1c552, v18
	v_fmac_f32_e32 v78, 0xbeae86e6, v16
	v_add_f32_e32 v16, v15, v82
	v_add_f32_e32 v74, v74, v82
	v_add_f32_e32 v76, v10, v14
	v_fmac_f32_e32 v80, 0xbee1c552, v18
	v_fmac_f32_e32 v81, 0xbee1c552, v19
	v_add_f32_e32 v15, v75, v17
	v_sub_f32_e32 v17, v17, v75
	v_mov_b32_e32 v75, 3
	v_fmac_f32_e32 v78, 0xbee1c552, v18
	v_fmac_f32_e32 v79, 0xbee1c552, v19
	;; [unrolled: 1-line block ×3, first 2 shown]
	v_add_f32_e32 v12, v81, v74
	v_sub_f32_e32 v13, v76, v80
	v_sub_f32_e32 v18, v74, v81
	v_add_f32_e32 v19, v80, v76
	v_mul_u32_u24_e32 v74, 0x2a0, v110
	v_lshlrev_b32_sdwa v76, v75, v111 dst_sel:DWORD dst_unused:UNUSED_PAD src0_sel:DWORD src1_sel:BYTE_0
	v_add3_u32 v74, 0, v74, v76
	ds_write2_b64 v74, v[20:21], v[22:23] offset1:12
	ds_write2_b64 v74, v[24:25], v[26:27] offset0:24 offset1:36
	ds_write2_b64 v74, v[28:29], v[30:31] offset0:48 offset1:60
	ds_write_b64 v74, v[32:33] offset:576
	v_mul_u32_u24_e32 v20, 0x2a0, v112
	v_lshlrev_b32_sdwa v21, v75, v113 dst_sel:DWORD dst_unused:UNUSED_PAD src0_sel:DWORD src1_sel:BYTE_0
	v_fmac_f32_e32 v1, 0x3d64c772, v11
	v_add3_u32 v20, 0, v20, v21
	v_add_f32_e32 v0, v0, v82
	v_add_f32_e32 v1, v1, v14
	ds_write2_b64 v20, v[34:35], v[36:37] offset1:12
	ds_write2_b64 v20, v[38:39], v[58:59] offset0:24 offset1:36
	ds_write2_b64 v20, v[56:57], v[4:5] offset0:48 offset1:60
	ds_write_b64 v20, v[6:7] offset:576
	v_mul_u32_u24_e32 v20, 0x2a0, v114
	v_lshlrev_b32_sdwa v21, v75, v115 dst_sel:DWORD dst_unused:UNUSED_PAD src0_sel:DWORD src1_sel:BYTE_0
	v_add_f32_e32 v10, v79, v0
	v_sub_f32_e32 v11, v1, v78
	v_add3_u32 v20, 0, v20, v21
	v_sub_f32_e32 v14, v16, v77
	v_add_f32_e32 v16, v77, v16
	v_sub_f32_e32 v0, v0, v79
	v_add_f32_e32 v1, v78, v1
	ds_write2_b64 v20, v[8:9], v[10:11] offset1:12
	ds_write2_b64 v20, v[12:13], v[14:15] offset0:24 offset1:36
	ds_write2_b64 v20, v[16:17], v[18:19] offset0:48 offset1:60
	ds_write_b64 v20, v[0:1] offset:576
	s_waitcnt lgkmcnt(0)
	; wave barrier
	s_waitcnt lgkmcnt(0)
	ds_read2_b64 v[20:23], v60 offset1:84
	ds_read2_b64 v[36:39], v60 offset0:168 offset1:252
	ds_read2_b64 v[32:35], v71 offset0:80 offset1:164
	;; [unrolled: 1-line block ×4, first 2 shown]
	ds_read_b64 v[58:59], v60 offset:6720
	v_cmp_gt_u32_e64 s[2:3], 40, v40
	s_and_saveexec_b64 s[4:5], s[2:3]
	s_cbranch_execz .LBB0_21
; %bb.20:
	ds_read_b64 v[56:57], v66
	ds_read2_b64 v[4:7], v60 offset0:128 offset1:212
	ds_read2_b64 v[8:11], v71 offset0:40 offset1:124
	;; [unrolled: 1-line block ×5, first 2 shown]
.LBB0_21:
	s_or_b64 exec, exec, s[4:5]
	v_mul_u32_u24_e32 v73, 10, v40
	v_lshlrev_b32_e32 v93, 3, v73
	global_load_dwordx4 v[73:76], v93, s[8:9] offset:656
	global_load_dwordx4 v[77:80], v93, s[8:9] offset:672
	;; [unrolled: 1-line block ×5, first 2 shown]
	s_mov_b32 s7, 0x3ed4b147
	s_mov_b32 s6, 0x3f575c64
	;; [unrolled: 1-line block ×5, first 2 shown]
	s_waitcnt lgkmcnt(0)
	; wave barrier
	s_waitcnt vmcnt(4) lgkmcnt(0)
	v_mul_f32_e32 v93, v74, v23
	v_mul_f32_e32 v74, v74, v22
	;; [unrolled: 1-line block ×4, first 2 shown]
	s_waitcnt vmcnt(1)
	v_mul_f32_e32 v100, v88, v25
	v_mul_f32_e32 v88, v88, v24
	s_waitcnt vmcnt(0)
	v_mul_f32_e32 v101, v27, v90
	v_mul_f32_e32 v90, v26, v90
	;; [unrolled: 1-line block ×4, first 2 shown]
	v_fmac_f32_e32 v93, v73, v22
	v_fma_f32 v22, v73, v23, -v74
	v_mul_f32_e32 v95, v78, v39
	v_mul_f32_e32 v78, v78, v38
	;; [unrolled: 1-line block ×10, first 2 shown]
	v_fmac_f32_e32 v94, v75, v36
	v_fma_f32 v36, v75, v37, -v76
	v_fmac_f32_e32 v100, v87, v24
	v_fma_f32 v24, v87, v25, -v88
	;; [unrolled: 2-line block ×3, first 2 shown]
	v_fma_f32 v23, v59, v91, -v92
	v_add_f32_e32 v26, v93, v20
	v_add_f32_e32 v27, v22, v21
	v_fma_f32 v37, v77, v39, -v78
	v_fmac_f32_e32 v96, v79, v32
	v_fma_f32 v32, v79, v33, -v80
	v_fma_f32 v33, v81, v35, -v82
	v_fmac_f32_e32 v98, v83, v28
	v_fma_f32 v28, v83, v29, -v84
	v_fma_f32 v29, v85, v31, -v86
	v_add_f32_e32 v31, v22, v23
	v_sub_f32_e32 v35, v22, v23
	v_add_f32_e32 v22, v26, v94
	v_add_f32_e32 v26, v27, v36
	;; [unrolled: 1-line block ×6, first 2 shown]
	v_fmac_f32_e32 v102, v58, v91
	v_add_f32_e32 v26, v26, v29
	v_fmac_f32_e32 v95, v77, v38
	v_fmac_f32_e32 v97, v81, v34
	;; [unrolled: 1-line block ×3, first 2 shown]
	v_add_f32_e32 v30, v93, v102
	v_sub_f32_e32 v34, v93, v102
	v_mul_f32_e32 v38, 0x3f575c64, v31
	v_mul_f32_e32 v39, 0xbf68dda4, v35
	;; [unrolled: 1-line block ×3, first 2 shown]
	v_add_f32_e32 v26, v26, v24
	v_mul_f32_e32 v77, 0xbe11bafb, v31
	v_mul_f32_e32 v81, 0xbf27a4f4, v31
	;; [unrolled: 1-line block ×3, first 2 shown]
	v_mov_b32_e32 v73, v38
	v_mov_b32_e32 v74, v39
	;; [unrolled: 1-line block ×3, first 2 shown]
	v_fma_f32 v39, v30, s7, -v39
	v_add_f32_e32 v26, v26, v25
	v_fmac_f32_e32 v58, 0xbf68dda4, v34
	v_mov_b32_e32 v78, v77
	v_mov_b32_e32 v82, v81
	;; [unrolled: 1-line block ×3, first 2 shown]
	v_mul_f32_e32 v27, 0xbf0a6770, v35
	v_fmac_f32_e32 v38, 0xbf0a6770, v34
	v_fmac_f32_e32 v73, 0x3f0a6770, v34
	;; [unrolled: 1-line block ×3, first 2 shown]
	v_add_f32_e32 v23, v26, v23
	v_add_f32_e32 v26, v39, v20
	;; [unrolled: 1-line block ×3, first 2 shown]
	v_mul_f32_e32 v58, 0xbf7d64f0, v35
	v_fmac_f32_e32 v78, 0x3f7d64f0, v34
	v_fmac_f32_e32 v77, 0xbf7d64f0, v34
	v_mul_f32_e32 v79, 0xbf4178ce, v35
	v_fmac_f32_e32 v82, 0x3f4178ce, v34
	v_fmac_f32_e32 v81, 0xbf4178ce, v34
	;; [unrolled: 3-line block ×3, first 2 shown]
	v_mov_b32_e32 v59, v27
	v_add_f32_e32 v38, v38, v21
	v_add_f32_e32 v73, v73, v21
	;; [unrolled: 1-line block ×3, first 2 shown]
	v_mov_b32_e32 v76, v58
	v_add_f32_e32 v78, v78, v21
	v_add_f32_e32 v77, v77, v21
	v_mov_b32_e32 v80, v79
	v_add_f32_e32 v82, v82, v21
	v_add_f32_e32 v81, v81, v21
	;; [unrolled: 3-line block ×3, first 2 shown]
	v_add_f32_e32 v31, v36, v25
	v_sub_f32_e32 v25, v36, v25
	v_fma_f32 v27, v30, s6, -v27
	v_fmac_f32_e32 v59, 0x3f575c64, v30
	v_fmac_f32_e32 v74, 0x3ed4b147, v30
	;; [unrolled: 1-line block ×3, first 2 shown]
	v_fma_f32 v58, v30, s10, -v58
	v_fmac_f32_e32 v80, 0xbf27a4f4, v30
	v_fma_f32 v79, v30, s11, -v79
	v_fmac_f32_e32 v83, 0xbf75a155, v30
	v_fma_f32 v30, v30, s14, -v35
	v_mul_f32_e32 v35, 0xbf68dda4, v25
	v_add_f32_e32 v27, v27, v20
	v_add_f32_e32 v59, v59, v20
	v_add_f32_e32 v74, v74, v20
	v_add_f32_e32 v76, v76, v20
	v_add_f32_e32 v58, v58, v20
	v_add_f32_e32 v80, v80, v20
	v_add_f32_e32 v79, v79, v20
	v_add_f32_e32 v83, v83, v20
	v_add_f32_e32 v20, v30, v20
	v_add_f32_e32 v30, v94, v101
	v_mov_b32_e32 v36, v35
	v_fmac_f32_e32 v36, 0x3ed4b147, v30
	v_sub_f32_e32 v34, v94, v101
	v_add_f32_e32 v36, v36, v59
	v_mul_f32_e32 v59, 0x3ed4b147, v31
	v_mov_b32_e32 v85, v59
	v_fma_f32 v35, v30, s7, -v35
	v_fmac_f32_e32 v59, 0xbf68dda4, v34
	v_add_f32_e32 v27, v35, v27
	v_add_f32_e32 v35, v59, v38
	v_mul_f32_e32 v38, 0xbf4178ce, v25
	v_mov_b32_e32 v59, v38
	v_fmac_f32_e32 v59, 0xbf27a4f4, v30
	v_fmac_f32_e32 v85, 0x3f68dda4, v34
	v_add_f32_e32 v59, v59, v74
	v_mul_f32_e32 v74, 0xbf27a4f4, v31
	v_add_f32_e32 v73, v85, v73
	v_mov_b32_e32 v85, v74
	v_fma_f32 v38, v30, s11, -v38
	v_fmac_f32_e32 v74, 0xbf4178ce, v34
	v_add_f32_e32 v26, v38, v26
	v_add_f32_e32 v38, v74, v39
	v_mul_f32_e32 v39, 0x3e903f40, v25
	v_mov_b32_e32 v74, v39
	v_fmac_f32_e32 v74, 0xbf75a155, v30
	v_fmac_f32_e32 v85, 0x3f4178ce, v34
	v_add_f32_e32 v74, v74, v76
	v_mul_f32_e32 v76, 0xbf75a155, v31
	v_add_f32_e32 v75, v85, v75
	v_mov_b32_e32 v85, v76
	v_fma_f32 v39, v30, s14, -v39
	v_fmac_f32_e32 v76, 0x3e903f40, v34
	v_add_f32_e32 v39, v39, v58
	v_add_f32_e32 v58, v76, v77
	v_mul_f32_e32 v76, 0x3f7d64f0, v25
	v_mov_b32_e32 v77, v76
	v_fmac_f32_e32 v77, 0xbe11bafb, v30
	v_fmac_f32_e32 v85, 0xbe903f40, v34
	v_add_f32_e32 v77, v77, v80
	v_mul_f32_e32 v80, 0xbe11bafb, v31
	v_add_f32_e32 v78, v85, v78
	v_mov_b32_e32 v85, v80
	v_fma_f32 v76, v30, s10, -v76
	v_fmac_f32_e32 v80, 0x3f7d64f0, v34
	v_mul_f32_e32 v25, 0x3f0a6770, v25
	v_add_f32_e32 v76, v76, v79
	v_add_f32_e32 v79, v80, v81
	v_mov_b32_e32 v80, v25
	v_mul_f32_e32 v31, 0x3f575c64, v31
	v_fmac_f32_e32 v80, 0x3f575c64, v30
	v_mov_b32_e32 v81, v31
	v_fma_f32 v25, v30, s6, -v25
	v_add_f32_e32 v30, v37, v24
	v_sub_f32_e32 v24, v37, v24
	v_fmac_f32_e32 v85, 0xbf7d64f0, v34
	v_fmac_f32_e32 v81, 0xbf0a6770, v34
	;; [unrolled: 1-line block ×3, first 2 shown]
	v_mul_f32_e32 v34, 0xbf7d64f0, v24
	v_add_f32_e32 v20, v25, v20
	v_add_f32_e32 v25, v95, v100
	v_mov_b32_e32 v37, v34
	v_fmac_f32_e32 v37, 0xbe11bafb, v25
	v_add_f32_e32 v21, v31, v21
	v_sub_f32_e32 v31, v95, v100
	v_add_f32_e32 v36, v37, v36
	v_mul_f32_e32 v37, 0xbe11bafb, v30
	v_add_f32_e32 v80, v80, v83
	v_mov_b32_e32 v83, v37
	v_fma_f32 v34, v25, s10, -v34
	v_fmac_f32_e32 v37, 0xbf7d64f0, v31
	v_add_f32_e32 v27, v34, v27
	v_add_f32_e32 v34, v37, v35
	v_mul_f32_e32 v35, 0x3e903f40, v24
	v_mov_b32_e32 v37, v35
	v_fmac_f32_e32 v37, 0xbf75a155, v25
	v_fmac_f32_e32 v83, 0x3f7d64f0, v31
	v_add_f32_e32 v37, v37, v59
	v_mul_f32_e32 v59, 0xbf75a155, v30
	v_add_f32_e32 v73, v83, v73
	v_mov_b32_e32 v83, v59
	v_fma_f32 v35, v25, s14, -v35
	v_fmac_f32_e32 v59, 0x3e903f40, v31
	v_add_f32_e32 v26, v35, v26
	v_add_f32_e32 v35, v59, v38
	v_mul_f32_e32 v38, 0x3f68dda4, v24
	v_mov_b32_e32 v59, v38
	v_fmac_f32_e32 v59, 0x3ed4b147, v25
	v_fmac_f32_e32 v83, 0xbe903f40, v31
	;; [unrolled: 12-line block ×3, first 2 shown]
	v_add_f32_e32 v74, v74, v77
	v_mul_f32_e32 v77, 0x3f575c64, v30
	v_add_f32_e32 v78, v83, v78
	v_mov_b32_e32 v83, v77
	v_fma_f32 v58, v25, s6, -v58
	v_fmac_f32_e32 v77, 0xbf0a6770, v31
	v_mul_f32_e32 v24, 0xbf4178ce, v24
	v_add_f32_e32 v58, v58, v76
	v_add_f32_e32 v76, v77, v79
	v_mov_b32_e32 v77, v24
	v_mul_f32_e32 v30, 0xbf27a4f4, v30
	v_fmac_f32_e32 v77, 0xbf27a4f4, v25
	v_mov_b32_e32 v79, v30
	v_fma_f32 v24, v25, s11, -v24
	v_add_f32_e32 v25, v32, v29
	v_sub_f32_e32 v29, v32, v29
	v_fmac_f32_e32 v83, 0x3f0a6770, v31
	v_fmac_f32_e32 v79, 0x3f4178ce, v31
	;; [unrolled: 1-line block ×3, first 2 shown]
	v_mul_f32_e32 v31, 0xbf4178ce, v29
	v_add_f32_e32 v20, v24, v20
	v_add_f32_e32 v24, v96, v99
	v_mov_b32_e32 v32, v31
	v_fmac_f32_e32 v32, 0xbf27a4f4, v24
	v_add_f32_e32 v21, v30, v21
	v_sub_f32_e32 v30, v96, v99
	v_add_f32_e32 v32, v32, v36
	v_mul_f32_e32 v36, 0xbf27a4f4, v25
	v_add_f32_e32 v77, v77, v80
	v_mov_b32_e32 v80, v36
	v_fma_f32 v31, v24, s11, -v31
	v_fmac_f32_e32 v36, 0xbf4178ce, v30
	v_add_f32_e32 v27, v31, v27
	v_add_f32_e32 v31, v36, v34
	v_mul_f32_e32 v34, 0x3f7d64f0, v29
	v_mov_b32_e32 v36, v34
	v_fmac_f32_e32 v36, 0xbe11bafb, v24
	v_fmac_f32_e32 v80, 0x3f4178ce, v30
	v_add_f32_e32 v36, v36, v37
	v_mul_f32_e32 v37, 0xbe11bafb, v25
	v_fma_f32 v34, v24, s10, -v34
	v_add_f32_e32 v73, v80, v73
	v_mov_b32_e32 v80, v37
	v_add_f32_e32 v34, v34, v26
	v_fmac_f32_e32 v37, 0x3f7d64f0, v30
	v_mul_f32_e32 v26, 0xbf0a6770, v29
	v_add_f32_e32 v35, v37, v35
	v_mov_b32_e32 v37, v26
	v_fmac_f32_e32 v37, 0x3f575c64, v24
	v_fmac_f32_e32 v80, 0xbf7d64f0, v30
	v_add_f32_e32 v37, v37, v59
	v_mul_f32_e32 v59, 0x3f575c64, v25
	v_fma_f32 v26, v24, s6, -v26
	v_add_f32_e32 v75, v80, v75
	v_mov_b32_e32 v80, v59
	v_add_f32_e32 v38, v26, v38
	v_fmac_f32_e32 v59, 0xbf0a6770, v30
	v_mul_f32_e32 v26, 0xbe903f40, v29
	v_add_f32_e32 v39, v59, v39
	v_mov_b32_e32 v59, v26
	v_fma_f32 v26, v24, s14, -v26
	v_fmac_f32_e32 v59, 0xbf75a155, v24
	v_add_f32_e32 v58, v26, v58
	v_mul_f32_e32 v26, 0x3f68dda4, v29
	v_fmac_f32_e32 v80, 0x3f0a6770, v30
	v_add_f32_e32 v59, v59, v74
	v_mul_f32_e32 v74, 0xbf75a155, v25
	v_mov_b32_e32 v29, v26
	v_add_f32_e32 v78, v80, v78
	v_mov_b32_e32 v80, v74
	v_fmac_f32_e32 v74, 0xbe903f40, v30
	v_fmac_f32_e32 v29, 0x3ed4b147, v24
	v_mul_f32_e32 v25, 0x3ed4b147, v25
	v_add_f32_e32 v81, v81, v84
	v_add_f32_e32 v74, v74, v76
	;; [unrolled: 1-line block ×3, first 2 shown]
	v_mov_b32_e32 v29, v25
	v_add_f32_e32 v82, v85, v82
	v_add_f32_e32 v79, v79, v81
	v_fmac_f32_e32 v29, 0xbf68dda4, v30
	v_fma_f32 v24, v24, s7, -v26
	v_sub_f32_e32 v85, v33, v28
	v_add_f32_e32 v82, v83, v82
	v_fmac_f32_e32 v80, 0x3e903f40, v30
	v_add_f32_e32 v77, v29, v79
	v_add_f32_e32 v79, v24, v20
	;; [unrolled: 1-line block ×3, first 2 shown]
	v_mul_f32_e32 v24, 0xbe903f40, v85
	v_mul_f32_e32 v28, 0x3f0a6770, v85
	v_add_f32_e32 v22, v22, v95
	v_add_f32_e32 v80, v80, v82
	;; [unrolled: 1-line block ×3, first 2 shown]
	v_mov_b32_e32 v20, v24
	v_mov_b32_e32 v26, v28
	v_add_f32_e32 v22, v22, v96
	v_fmac_f32_e32 v20, 0xbf75a155, v82
	v_fmac_f32_e32 v26, 0x3f575c64, v82
	v_add_f32_e32 v22, v22, v97
	v_fmac_f32_e32 v25, 0x3f68dda4, v30
	v_add_f32_e32 v20, v20, v32
	v_add_f32_e32 v26, v26, v36
	v_fma_f32 v28, v82, s6, -v28
	v_mul_f32_e32 v32, 0xbf4178ce, v85
	v_mul_f32_e32 v36, 0x3f68dda4, v85
	v_add_f32_e32 v22, v22, v98
	v_add_f32_e32 v81, v25, v21
	v_sub_f32_e32 v84, v97, v98
	v_mul_f32_e32 v25, 0xbf75a155, v83
	v_add_f32_e32 v28, v28, v34
	v_mov_b32_e32 v30, v32
	v_mov_b32_e32 v34, v36
	v_add_f32_e32 v22, v22, v99
	v_mov_b32_e32 v21, v25
	v_fma_f32 v24, v82, s14, -v24
	v_fmac_f32_e32 v25, 0xbe903f40, v84
	v_mul_f32_e32 v29, 0x3f575c64, v83
	v_fmac_f32_e32 v30, 0xbf27a4f4, v82
	v_mul_f32_e32 v33, 0xbf27a4f4, v83
	v_fmac_f32_e32 v34, 0x3ed4b147, v82
	v_fma_f32 v36, v82, s7, -v36
	v_add_f32_e32 v22, v22, v100
	v_add_f32_e32 v24, v24, v27
	v_add_f32_e32 v25, v25, v31
	v_mov_b32_e32 v27, v29
	v_fmac_f32_e32 v29, 0x3f0a6770, v84
	v_add_f32_e32 v30, v30, v37
	v_mov_b32_e32 v31, v33
	v_fma_f32 v32, v82, s11, -v32
	v_fmac_f32_e32 v33, 0xbf4178ce, v84
	v_add_f32_e32 v34, v34, v59
	v_mul_f32_e32 v37, 0x3ed4b147, v83
	v_add_f32_e32 v36, v36, v58
	v_mul_f32_e32 v58, 0xbf7d64f0, v85
	v_mul_f32_e32 v59, 0xbe11bafb, v83
	v_add_f32_e32 v22, v22, v101
	v_fmac_f32_e32 v21, 0x3e903f40, v84
	v_add_f32_e32 v29, v29, v35
	v_add_f32_e32 v32, v32, v38
	;; [unrolled: 1-line block ×3, first 2 shown]
	v_mov_b32_e32 v35, v37
	v_mov_b32_e32 v38, v58
	;; [unrolled: 1-line block ×3, first 2 shown]
	v_add_f32_e32 v22, v22, v102
	v_add_f32_e32 v21, v21, v73
	v_fmac_f32_e32 v27, 0xbf0a6770, v84
	v_fmac_f32_e32 v31, 0x3f4178ce, v84
	;; [unrolled: 1-line block ×6, first 2 shown]
	v_fma_f32 v58, v82, s10, -v58
	v_fmac_f32_e32 v59, 0xbf7d64f0, v84
	v_add_f32_e32 v27, v27, v75
	v_add_f32_e32 v31, v31, v78
	;; [unrolled: 1-line block ×8, first 2 shown]
	ds_write2_b64 v60, v[22:23], v[20:21] offset1:84
	ds_write2_b64 v60, v[26:27], v[30:31] offset0:168 offset1:252
	ds_write2_b64 v71, v[34:35], v[38:39] offset0:80 offset1:164
	;; [unrolled: 1-line block ×4, first 2 shown]
	ds_write_b64 v60, v[24:25] offset:6720
	s_and_saveexec_b64 s[4:5], s[2:3]
	s_cbranch_execz .LBB0_23
; %bb.22:
	v_subrev_u32_e32 v20, 40, v40
	v_cndmask_b32_e64 v20, v20, v44, s[2:3]
	v_mul_i32_i24_e32 v20, 10, v20
	v_mov_b32_e32 v21, 0
	v_lshlrev_b64 v[20:21], 3, v[20:21]
	v_mov_b32_e32 v22, s9
	v_add_co_u32_e64 v58, s[2:3], s8, v20
	v_addc_co_u32_e64 v59, s[2:3], v22, v21, s[2:3]
	global_load_dwordx4 v[20:23], v[58:59], off offset:656
	global_load_dwordx4 v[24:27], v[58:59], off offset:720
	;; [unrolled: 1-line block ×5, first 2 shown]
	s_waitcnt vmcnt(4)
	v_mul_f32_e32 v52, v5, v21
	s_waitcnt vmcnt(3)
	v_mul_f32_e32 v58, v3, v27
	v_mul_f32_e32 v59, v7, v23
	;; [unrolled: 1-line block ×4, first 2 shown]
	v_fmac_f32_e32 v52, v4, v20
	v_fmac_f32_e32 v58, v2, v26
	v_mul_f32_e32 v27, v2, v27
	v_mul_f32_e32 v21, v4, v21
	;; [unrolled: 1-line block ×3, first 2 shown]
	s_waitcnt vmcnt(2)
	v_mul_f32_e32 v72, v9, v29
	s_waitcnt vmcnt(1)
	v_mul_f32_e32 v73, v19, v35
	v_mul_f32_e32 v74, v11, v31
	v_fmac_f32_e32 v59, v6, v22
	v_fmac_f32_e32 v71, v0, v24
	v_fma_f32 v22, v7, v22, -v23
	v_sub_f32_e32 v23, v52, v58
	v_mul_f32_e32 v75, v17, v33
	v_mul_f32_e32 v33, v16, v33
	;; [unrolled: 1-line block ×3, first 2 shown]
	s_waitcnt vmcnt(0)
	v_mul_f32_e32 v76, v13, v37
	v_fma_f32 v26, v3, v26, -v27
	v_fma_f32 v20, v5, v20, -v21
	;; [unrolled: 1-line block ×3, first 2 shown]
	v_fmac_f32_e32 v72, v8, v28
	v_fmac_f32_e32 v73, v18, v34
	;; [unrolled: 1-line block ×3, first 2 shown]
	v_sub_f32_e32 v24, v59, v71
	v_mul_f32_e32 v10, 0xbf68dda4, v23
	v_mul_f32_e32 v35, v18, v35
	;; [unrolled: 1-line block ×6, first 2 shown]
	v_fmac_f32_e32 v75, v16, v32
	v_fma_f32 v16, v17, v32, -v33
	v_fma_f32 v17, v11, v30, -v31
	v_fmac_f32_e32 v76, v12, v36
	v_add_f32_e32 v12, v20, v26
	v_sub_f32_e32 v25, v72, v73
	v_mul_f32_e32 v11, 0xbf4178ce, v24
	v_mov_b32_e32 v0, v10
	v_fma_f32 v18, v19, v34, -v35
	v_fma_f32 v19, v9, v28, -v29
	v_fmac_f32_e32 v77, v14, v38
	v_fma_f32 v14, v15, v38, -v39
	v_fma_f32 v15, v13, v36, -v37
	v_add_f32_e32 v13, v22, v21
	v_sub_f32_e32 v28, v74, v75
	v_mul_f32_e32 v38, 0x3e903f40, v25
	v_mov_b32_e32 v1, v11
	v_fmac_f32_e32 v0, 0x3ed4b147, v12
	v_add_f32_e32 v27, v19, v18
	v_sub_f32_e32 v30, v76, v77
	v_sub_f32_e32 v33, v20, v26
	v_mul_f32_e32 v39, 0x3f7d64f0, v28
	v_mov_b32_e32 v2, v38
	v_fmac_f32_e32 v1, 0xbf27a4f4, v13
	v_add_f32_e32 v0, v57, v0
	v_add_f32_e32 v29, v17, v16
	;; [unrolled: 1-line block ×3, first 2 shown]
	v_sub_f32_e32 v35, v22, v21
	v_mul_f32_e32 v78, 0x3f0a6770, v30
	v_mul_f32_e32 v79, 0xbf68dda4, v33
	v_mov_b32_e32 v3, v39
	v_fmac_f32_e32 v2, 0xbf75a155, v27
	v_add_f32_e32 v0, v1, v0
	v_add_f32_e32 v31, v15, v14
	;; [unrolled: 1-line block ×3, first 2 shown]
	v_sub_f32_e32 v37, v19, v18
	v_mul_f32_e32 v80, 0xbf4178ce, v35
	v_mov_b32_e32 v4, v78
	v_fma_f32 v5, v32, s7, -v79
	v_fmac_f32_e32 v3, 0xbe11bafb, v29
	v_add_f32_e32 v0, v2, v0
	v_add_f32_e32 v36, v72, v73
	v_fma_f32 v6, v34, s11, -v80
	v_fmac_f32_e32 v4, 0x3f575c64, v31
	v_add_f32_e32 v5, v56, v5
	v_add_f32_e32 v0, v3, v0
	v_mul_f32_e32 v81, 0x3e903f40, v37
	v_sub_f32_e32 v83, v17, v16
	v_add_f32_e32 v5, v6, v5
	v_add_f32_e32 v1, v4, v0
	v_fma_f32 v0, v36, s14, -v81
	v_add_f32_e32 v82, v74, v75
	v_mul_f32_e32 v84, 0x3f7d64f0, v83
	v_sub_f32_e32 v86, v15, v14
	v_add_f32_e32 v0, v0, v5
	v_fma_f32 v2, v82, s10, -v84
	v_add_f32_e32 v85, v76, v77
	v_mul_f32_e32 v87, 0x3f0a6770, v86
	v_add_f32_e32 v0, v2, v0
	v_fma_f32 v2, v85, s6, -v87
	v_mul_f32_e32 v6, 0xbf4178ce, v23
	v_add_f32_e32 v0, v2, v0
	v_mov_b32_e32 v2, v6
	v_mul_f32_e32 v7, 0x3f7d64f0, v24
	v_fmac_f32_e32 v2, 0xbf27a4f4, v12
	v_mov_b32_e32 v3, v7
	v_add_f32_e32 v2, v57, v2
	v_fmac_f32_e32 v3, 0xbe11bafb, v13
	v_mul_f32_e32 v8, 0xbf0a6770, v25
	v_add_f32_e32 v2, v3, v2
	v_mov_b32_e32 v3, v8
	v_fmac_f32_e32 v3, 0x3f575c64, v27
	v_mul_f32_e32 v9, 0xbe903f40, v28
	v_add_f32_e32 v2, v3, v2
	v_mov_b32_e32 v3, v9
	;; [unrolled: 4-line block ×3, first 2 shown]
	v_fmac_f32_e32 v3, 0x3ed4b147, v31
	v_mul_f32_e32 v89, 0xbf4178ce, v33
	v_add_f32_e32 v3, v3, v2
	v_fma_f32 v2, v32, s11, -v89
	v_mul_f32_e32 v90, 0x3f7d64f0, v35
	v_add_f32_e32 v2, v56, v2
	v_fma_f32 v4, v34, s10, -v90
	;; [unrolled: 3-line block ×5, first 2 shown]
	v_mul_f32_e32 v94, 0xbf75a155, v12
	v_add_f32_e32 v2, v4, v2
	v_mov_b32_e32 v4, v94
	v_mul_f32_e32 v95, 0x3f575c64, v13
	v_fmac_f32_e32 v4, 0x3e903f40, v23
	v_mov_b32_e32 v5, v95
	v_add_f32_e32 v4, v57, v4
	v_fmac_f32_e32 v5, 0xbf0a6770, v24
	v_mul_f32_e32 v96, 0xbf27a4f4, v27
	v_add_f32_e32 v4, v5, v4
	v_mov_b32_e32 v5, v96
	v_fmac_f32_e32 v5, 0x3f4178ce, v25
	v_mul_f32_e32 v97, 0x3ed4b147, v29
	v_add_f32_e32 v4, v5, v4
	v_mov_b32_e32 v5, v97
	;; [unrolled: 4-line block ×3, first 2 shown]
	v_fma_f32 v6, v12, s11, -v6
	v_fmac_f32_e32 v5, 0x3f7d64f0, v30
	v_mul_f32_e32 v99, 0xbe903f40, v33
	v_add_f32_e32 v6, v57, v6
	v_fma_f32 v7, v13, s10, -v7
	v_add_f32_e32 v20, v57, v20
	v_add_f32_e32 v5, v5, v4
	v_mov_b32_e32 v4, v99
	v_mul_f32_e32 v100, 0x3f0a6770, v35
	v_add_f32_e32 v6, v7, v6
	v_fma_f32 v7, v27, s6, -v8
	v_add_f32_e32 v20, v20, v22
	v_fmac_f32_e32 v4, 0xbf75a155, v32
	v_mov_b32_e32 v101, v100
	v_add_f32_e32 v6, v7, v6
	v_fma_f32 v7, v29, s14, -v9
	v_add_f32_e32 v19, v20, v19
	v_add_f32_e32 v4, v56, v4
	v_fmac_f32_e32 v101, 0x3f575c64, v34
	v_add_f32_e32 v6, v7, v6
	v_fma_f32 v7, v31, s7, -v88
	v_fmac_f32_e32 v89, 0xbf27a4f4, v32
	v_mul_f32_e32 v88, 0xbe11bafb, v12
	v_add_f32_e32 v17, v19, v17
	v_add_f32_e32 v4, v101, v4
	v_mul_f32_e32 v101, 0xbf4178ce, v37
	v_add_f32_e32 v7, v7, v6
	v_add_f32_e32 v6, v56, v89
	v_mov_b32_e32 v8, v88
	v_mul_f32_e32 v89, 0xbf75a155, v13
	v_add_f32_e32 v15, v17, v15
	v_mov_b32_e32 v102, v101
	v_fmac_f32_e32 v90, 0xbe11bafb, v34
	v_fmac_f32_e32 v8, 0x3f7d64f0, v23
	v_mov_b32_e32 v9, v89
	v_fma_f32 v10, v12, s7, -v10
	v_add_f32_e32 v14, v15, v14
	v_fmac_f32_e32 v94, 0xbe903f40, v23
	v_fmac_f32_e32 v102, 0xbf27a4f4, v36
	v_add_f32_e32 v6, v90, v6
	v_add_f32_e32 v8, v57, v8
	v_fmac_f32_e32 v9, 0xbe903f40, v24
	v_mul_f32_e32 v90, 0x3ed4b147, v27
	v_add_f32_e32 v10, v57, v10
	v_fma_f32 v11, v13, s11, -v11
	v_add_f32_e32 v14, v14, v16
	v_add_f32_e32 v16, v57, v94
	v_fmac_f32_e32 v95, 0x3f0a6770, v24
	v_add_f32_e32 v4, v102, v4
	v_mul_f32_e32 v102, 0x3f68dda4, v83
	v_fmac_f32_e32 v91, 0x3f575c64, v36
	v_add_f32_e32 v8, v9, v8
	v_mov_b32_e32 v9, v90
	v_add_f32_e32 v10, v11, v10
	v_fma_f32 v11, v27, s14, -v38
	v_mul_f32_e32 v38, 0x3f575c64, v12
	v_add_f32_e32 v16, v95, v16
	v_fmac_f32_e32 v96, 0xbf4178ce, v25
	v_mov_b32_e32 v103, v102
	v_add_f32_e32 v6, v91, v6
	v_fmac_f32_e32 v9, 0xbf68dda4, v25
	v_mul_f32_e32 v91, 0x3f575c64, v29
	v_add_f32_e32 v10, v11, v10
	v_fma_f32 v11, v29, s10, -v39
	v_mov_b32_e32 v12, v38
	v_mul_f32_e32 v39, 0x3ed4b147, v13
	v_add_f32_e32 v16, v96, v16
	v_fmac_f32_e32 v97, 0x3f68dda4, v28
	v_fmac_f32_e32 v103, 0x3ed4b147, v82
	;; [unrolled: 1-line block ×3, first 2 shown]
	v_add_f32_e32 v8, v9, v8
	v_mov_b32_e32 v9, v91
	v_fmac_f32_e32 v12, 0x3f0a6770, v23
	v_mov_b32_e32 v13, v39
	v_add_f32_e32 v16, v97, v16
	v_fmac_f32_e32 v98, 0xbf7d64f0, v30
	v_add_f32_e32 v4, v103, v4
	v_mul_f32_e32 v103, 0xbf7d64f0, v86
	v_add_f32_e32 v6, v92, v6
	v_fmac_f32_e32 v9, 0x3f0a6770, v28
	v_mul_f32_e32 v92, 0xbf27a4f4, v31
	v_add_f32_e32 v12, v57, v12
	v_fmac_f32_e32 v13, 0x3f68dda4, v24
	v_mul_f32_e32 v27, 0xbe11bafb, v27
	v_add_f32_e32 v17, v98, v16
	v_fma_f32 v16, v32, s14, -v99
	v_mov_b32_e32 v104, v103
	v_fmac_f32_e32 v93, 0x3ed4b147, v85
	v_add_f32_e32 v8, v9, v8
	v_mov_b32_e32 v9, v92
	v_add_f32_e32 v12, v13, v12
	v_mov_b32_e32 v13, v27
	v_add_f32_e32 v14, v14, v18
	v_add_f32_e32 v16, v56, v16
	v_fma_f32 v18, v34, s6, -v100
	v_fmac_f32_e32 v104, 0xbe11bafb, v85
	v_add_f32_e32 v6, v93, v6
	v_fmac_f32_e32 v9, 0x3f4178ce, v30
	v_mul_f32_e32 v93, 0xbf7d64f0, v33
	v_fmac_f32_e32 v13, 0x3f7d64f0, v25
	v_mul_f32_e32 v29, 0xbf27a4f4, v29
	v_add_f32_e32 v16, v18, v16
	v_fma_f32 v18, v36, s11, -v101
	v_add_f32_e32 v4, v104, v4
	v_add_f32_e32 v9, v9, v8
	v_mov_b32_e32 v8, v93
	v_mul_f32_e32 v104, 0x3e903f40, v35
	v_add_f32_e32 v12, v13, v12
	v_mov_b32_e32 v13, v29
	v_add_f32_e32 v16, v18, v16
	v_fma_f32 v18, v82, s7, -v102
	v_fmac_f32_e32 v8, 0xbe11bafb, v32
	v_mov_b32_e32 v105, v104
	v_add_f32_e32 v10, v11, v10
	v_fma_f32 v11, v31, s6, -v78
	v_fmac_f32_e32 v13, 0x3f4178ce, v28
	v_mul_f32_e32 v31, 0xbf75a155, v31
	v_add_f32_e32 v16, v18, v16
	v_fma_f32 v18, v85, s10, -v103
	v_fmac_f32_e32 v88, 0xbf7d64f0, v23
	v_add_f32_e32 v8, v56, v8
	v_fmac_f32_e32 v105, 0xbf75a155, v34
	v_add_f32_e32 v12, v13, v12
	v_mov_b32_e32 v13, v31
	v_add_f32_e32 v16, v18, v16
	v_add_f32_e32 v18, v57, v88
	v_fmac_f32_e32 v89, 0x3e903f40, v24
	v_add_f32_e32 v8, v105, v8
	v_mul_f32_e32 v105, 0x3f68dda4, v37
	v_fmac_f32_e32 v13, 0x3e903f40, v30
	v_mul_f32_e32 v33, 0xbf0a6770, v33
	v_add_f32_e32 v18, v89, v18
	v_fmac_f32_e32 v90, 0x3f68dda4, v25
	v_mov_b32_e32 v106, v105
	v_add_f32_e32 v13, v13, v12
	v_mov_b32_e32 v12, v33
	v_mul_f32_e32 v35, 0xbf68dda4, v35
	v_add_f32_e32 v18, v90, v18
	v_fmac_f32_e32 v91, 0xbf0a6770, v28
	v_fmac_f32_e32 v106, 0x3ed4b147, v36
	;; [unrolled: 1-line block ×3, first 2 shown]
	v_mov_b32_e32 v78, v35
	v_add_f32_e32 v14, v14, v21
	v_add_f32_e32 v18, v91, v18
	v_fmac_f32_e32 v92, 0xbf4178ce, v30
	v_add_f32_e32 v8, v106, v8
	v_mul_f32_e32 v106, 0xbf0a6770, v83
	v_add_f32_e32 v12, v56, v12
	v_fmac_f32_e32 v78, 0x3ed4b147, v34
	v_mul_f32_e32 v37, 0xbf7d64f0, v37
	v_add_f32_e32 v15, v14, v26
	v_add_f32_e32 v14, v56, v52
	;; [unrolled: 1-line block ×3, first 2 shown]
	v_fma_f32 v18, v32, s10, -v93
	v_mov_b32_e32 v107, v106
	v_add_f32_e32 v12, v78, v12
	v_mov_b32_e32 v78, v37
	v_add_f32_e32 v14, v14, v59
	v_add_f32_e32 v18, v56, v18
	v_fma_f32 v20, v34, s14, -v104
	v_fmac_f32_e32 v107, 0x3f575c64, v82
	v_fmac_f32_e32 v78, 0xbe11bafb, v36
	v_add_f32_e32 v14, v14, v72
	v_add_f32_e32 v18, v20, v18
	v_fma_f32 v20, v36, s7, -v105
	v_add_f32_e32 v8, v107, v8
	v_mul_f32_e32 v107, 0xbf4178ce, v86
	v_fmac_f32_e32 v79, 0x3ed4b147, v32
	v_add_f32_e32 v12, v78, v12
	v_mul_f32_e32 v78, 0xbf4178ce, v83
	v_add_f32_e32 v14, v14, v74
	v_add_f32_e32 v18, v20, v18
	v_fma_f32 v20, v82, s6, -v106
	v_add_f32_e32 v11, v11, v10
	v_add_f32_e32 v10, v56, v79
	v_mov_b32_e32 v79, v78
	v_add_f32_e32 v14, v14, v76
	v_add_f32_e32 v18, v20, v18
	v_fma_f32 v20, v85, s11, -v107
	v_fmac_f32_e32 v38, 0xbf0a6770, v23
	v_fmac_f32_e32 v79, 0xbf27a4f4, v82
	v_add_f32_e32 v14, v14, v77
	v_add_f32_e32 v18, v20, v18
	;; [unrolled: 1-line block ×3, first 2 shown]
	v_fmac_f32_e32 v39, 0xbf68dda4, v24
	v_fmac_f32_e32 v80, 0xbf27a4f4, v34
	v_add_f32_e32 v12, v79, v12
	v_mul_f32_e32 v79, 0xbe903f40, v86
	v_add_f32_e32 v14, v14, v75
	v_add_f32_e32 v20, v39, v20
	v_fmac_f32_e32 v27, 0xbf7d64f0, v25
	v_add_f32_e32 v10, v80, v10
	v_fmac_f32_e32 v81, 0xbf75a155, v36
	v_mov_b32_e32 v80, v79
	v_add_f32_e32 v14, v14, v73
	v_add_f32_e32 v20, v27, v20
	v_fmac_f32_e32 v29, 0xbf4178ce, v28
	v_mov_b32_e32 v108, v107
	v_add_f32_e32 v10, v81, v10
	v_fmac_f32_e32 v84, 0xbe11bafb, v82
	v_fmac_f32_e32 v80, 0xbf75a155, v85
	v_add_f32_e32 v14, v14, v71
	v_add_f32_e32 v20, v29, v20
	v_fmac_f32_e32 v31, 0xbe903f40, v30
	v_fmac_f32_e32 v108, 0xbf27a4f4, v85
	v_add_f32_e32 v10, v84, v10
	v_fmac_f32_e32 v87, 0x3f575c64, v85
	v_add_f32_e32 v12, v80, v12
	v_add_f32_e32 v14, v14, v58
	;; [unrolled: 1-line block ×3, first 2 shown]
	v_fma_f32 v20, v32, s6, -v33
	v_add_f32_e32 v8, v108, v8
	v_add_f32_e32 v10, v87, v10
	;; [unrolled: 1-line block ×3, first 2 shown]
	v_fma_f32 v22, v34, s7, -v35
	ds_write2_b64 v60, v[14:15], v[12:13] offset0:44 offset1:128
	v_add_u32_e32 v12, 0x400, v60
	v_add_f32_e32 v20, v22, v20
	v_fma_f32 v22, v36, s10, -v37
	ds_write2_b64 v12, v[10:11], v[8:9] offset0:84 offset1:168
	v_add_u32_e32 v8, 0x800, v60
	v_add_f32_e32 v20, v22, v20
	;; [unrolled: 4-line block ×4, first 2 shown]
	ds_write2_b64 v2, v[18:19], v[0:1] offset0:76 offset1:160
	ds_write_b64 v60, v[20:21] offset:7072
.LBB0_23:
	s_or_b64 exec, exec, s[4:5]
	s_waitcnt lgkmcnt(0)
	; wave barrier
	s_waitcnt lgkmcnt(0)
	ds_read_b64 v[2:3], v60
	s_add_u32 s6, s8, 0x1cd0
	s_addc_u32 s7, s9, 0
	v_sub_u32_e32 v4, 0, v41
	v_cmp_ne_u32_e64 s[2:3], 0, v40
                                        ; implicit-def: $vgpr1
                                        ; implicit-def: $vgpr6
	s_and_saveexec_b64 s[4:5], s[2:3]
	s_xor_b64 s[4:5], exec, s[4:5]
	s_cbranch_execz .LBB0_25
; %bb.24:
	v_mov_b32_e32 v41, 0
	v_lshlrev_b64 v[0:1], 3, v[40:41]
	v_mov_b32_e32 v5, s7
	v_add_co_u32_e64 v0, s[2:3], s6, v0
	v_addc_co_u32_e64 v1, s[2:3], v5, v1, s[2:3]
	global_load_dwordx2 v[5:6], v[0:1], off
	ds_read_b64 v[0:1], v4 offset:7392
	s_waitcnt lgkmcnt(0)
	v_add_f32_e32 v7, v0, v2
	v_sub_f32_e32 v0, v2, v0
	v_add_f32_e32 v8, v1, v3
	v_sub_f32_e32 v1, v3, v1
	v_mul_f32_e32 v3, 0.5, v0
	v_mul_f32_e32 v0, 0.5, v1
	;; [unrolled: 1-line block ×3, first 2 shown]
	s_waitcnt vmcnt(0)
	v_mul_f32_e32 v1, v6, v3
	v_fma_f32 v10, 0.5, v7, v1
	v_fma_f32 v8, v2, v6, v0
	v_fma_f32 v9, v2, v6, -v0
	v_fma_f32 v0, v7, 0.5, -v1
	v_fmac_f32_e32 v10, v5, v2
	v_fma_f32 v6, -v5, v3, v8
	v_fma_f32 v0, -v5, v2, v0
	ds_write_b32 v60, v10
	v_fma_f32 v1, -v5, v3, v9
                                        ; implicit-def: $vgpr2_vgpr3
.LBB0_25:
	s_or_saveexec_b64 s[2:3], s[4:5]
	v_sub_u32_e32 v5, 0, v45
	s_xor_b64 exec, exec, s[2:3]
	s_cbranch_execz .LBB0_27
; %bb.26:
	v_mov_b32_e32 v6, 0
	ds_read_b32 v1, v6 offset:3700
	s_waitcnt lgkmcnt(1)
	v_add_f32_e32 v7, v2, v3
	v_sub_f32_e32 v0, v2, v3
	ds_write_b32 v60, v7
	s_waitcnt lgkmcnt(1)
	v_xor_b32_e32 v1, 0x80000000, v1
	ds_write_b32 v6, v1 offset:3700
	v_mov_b32_e32 v1, v6
.LBB0_27:
	s_or_b64 exec, exec, s[2:3]
	v_mov_b32_e32 v45, 0
	s_waitcnt lgkmcnt(0)
	v_lshlrev_b64 v[2:3], 3, v[44:45]
	v_mov_b32_e32 v7, s7
	v_add_co_u32_e64 v2, s[2:3], s6, v2
	v_addc_co_u32_e64 v3, s[2:3], v7, v3, s[2:3]
	global_load_dwordx2 v[2:3], v[2:3], off
	v_mov_b32_e32 v56, v45
	v_lshlrev_b64 v[7:8], 3, v[55:56]
	v_mov_b32_e32 v9, s7
	v_add_co_u32_e64 v7, s[2:3], s6, v7
	v_addc_co_u32_e64 v8, s[2:3], v9, v8, s[2:3]
	global_load_dwordx2 v[7:8], v[7:8], off
	v_mov_b32_e32 v55, v45
	;; [unrolled: 6-line block ×3, first 2 shown]
	v_lshlrev_b64 v[13:14], 3, v[51:52]
	ds_write_b32 v60, v6 offset:4
	ds_write_b64 v4, v[0:1] offset:7392
	v_mov_b32_e32 v6, s7
	v_add_co_u32_e64 v13, s[2:3], s6, v13
	v_addc_co_u32_e64 v14, s[2:3], v6, v14, s[2:3]
	ds_read_b64 v[0:1], v66
	ds_read_b64 v[11:12], v4 offset:7040
	global_load_dwordx2 v[13:14], v[13:14], off
	v_mov_b32_e32 v54, v45
	v_lshlrev_b64 v[15:16], 3, v[53:54]
	v_mov_b32_e32 v17, s7
	s_waitcnt lgkmcnt(0)
	v_add_f32_e32 v6, v0, v11
	v_sub_f32_e32 v0, v0, v11
	v_add_f32_e32 v18, v1, v12
	v_sub_f32_e32 v1, v1, v12
	v_mul_f32_e32 v12, 0.5, v0
	v_mul_f32_e32 v11, 0.5, v18
	;; [unrolled: 1-line block ×3, first 2 shown]
	v_mov_b32_e32 v51, v45
	s_waitcnt vmcnt(3)
	v_mul_f32_e32 v18, v3, v12
	v_fma_f32 v1, v11, v3, v0
	v_fma_f32 v3, v11, v3, -v0
	v_fma_f32 v0, 0.5, v6, v18
	v_fma_f32 v6, v6, 0.5, -v18
	v_fma_f32 v1, -v2, v12, v1
	v_fma_f32 v3, -v2, v12, v3
	v_fmac_f32_e32 v0, v2, v11
	v_fma_f32 v2, -v2, v11, v6
	v_add_co_u32_e64 v11, s[2:3], s6, v15
	ds_write_b64 v66, v[0:1]
	ds_write_b64 v4, v[2:3] offset:7040
	v_addc_co_u32_e64 v12, s[2:3], v17, v16, s[2:3]
	ds_read_b64 v[0:1], v65
	ds_read_b64 v[2:3], v4 offset:6688
	global_load_dwordx2 v[11:12], v[11:12], off
	s_waitcnt lgkmcnt(0)
	v_add_f32_e32 v6, v0, v2
	v_sub_f32_e32 v0, v0, v2
	v_add_f32_e32 v15, v1, v3
	v_sub_f32_e32 v1, v1, v3
	v_mul_f32_e32 v3, 0.5, v0
	v_mul_f32_e32 v2, 0.5, v15
	;; [unrolled: 1-line block ×3, first 2 shown]
	s_waitcnt vmcnt(3)
	v_mul_f32_e32 v15, v8, v3
	v_fma_f32 v1, v2, v8, v0
	v_fma_f32 v8, v2, v8, -v0
	v_fma_f32 v0, 0.5, v6, v15
	v_fma_f32 v1, -v7, v3, v1
	v_fma_f32 v6, v6, 0.5, -v15
	v_fmac_f32_e32 v0, v7, v2
	v_fma_f32 v3, -v7, v3, v8
	v_fma_f32 v2, -v7, v2, v6
	ds_write_b64 v65, v[0:1]
	ds_write_b64 v4, v[2:3] offset:6688
	ds_read_b64 v[0:1], v64
	ds_read_b64 v[2:3], v4 offset:6336
	v_lshlrev_b64 v[6:7], 3, v[50:51]
	v_mov_b32_e32 v8, s7
	v_add_co_u32_e64 v6, s[2:3], s6, v6
	s_waitcnt lgkmcnt(0)
	v_add_f32_e32 v15, v0, v2
	v_sub_f32_e32 v0, v0, v2
	v_add_f32_e32 v16, v1, v3
	v_sub_f32_e32 v1, v1, v3
	v_mul_f32_e32 v3, 0.5, v0
	v_mul_f32_e32 v2, 0.5, v16
	;; [unrolled: 1-line block ×3, first 2 shown]
	s_waitcnt vmcnt(2)
	v_mul_f32_e32 v16, v10, v3
	v_fma_f32 v1, v2, v10, v0
	v_fma_f32 v10, v2, v10, -v0
	v_fma_f32 v0, 0.5, v15, v16
	v_fma_f32 v1, -v9, v3, v1
	v_fma_f32 v15, v15, 0.5, -v16
	v_fmac_f32_e32 v0, v9, v2
	v_fma_f32 v3, -v9, v3, v10
	v_fma_f32 v2, -v9, v2, v15
	ds_write_b64 v64, v[0:1]
	ds_write_b64 v4, v[2:3] offset:6336
	ds_read_b64 v[0:1], v63
	ds_read_b64 v[2:3], v4 offset:5984
	v_addc_co_u32_e64 v7, s[2:3], v8, v7, s[2:3]
	global_load_dwordx2 v[6:7], v[6:7], off
	v_mov_b32_e32 v50, v45
	s_waitcnt lgkmcnt(0)
	v_add_f32_e32 v8, v0, v2
	v_add_f32_e32 v9, v1, v3
	v_sub_f32_e32 v0, v0, v2
	v_sub_f32_e32 v1, v1, v3
	v_mul_f32_e32 v2, 0.5, v9
	v_mul_f32_e32 v9, 0.5, v0
	;; [unrolled: 1-line block ×3, first 2 shown]
	s_waitcnt vmcnt(2)
	v_mul_f32_e32 v10, v14, v9
	v_fma_f32 v0, 0.5, v8, v10
	v_fma_f32 v1, v2, v14, v3
	v_fmac_f32_e32 v0, v13, v2
	v_fma_f32 v1, -v13, v9, v1
	ds_write_b64 v63, v[0:1]
	v_fma_f32 v0, v8, 0.5, -v10
	v_fma_f32 v0, -v13, v2, v0
	v_fma_f32 v8, v2, v14, -v3
	v_lshlrev_b64 v[1:2], 3, v[49:50]
	v_mov_b32_e32 v3, s7
	v_add_co_u32_e64 v1, s[2:3], s6, v1
	v_addc_co_u32_e64 v2, s[2:3], v3, v2, s[2:3]
	global_load_dwordx2 v[2:3], v[1:2], off
	v_fma_f32 v1, -v13, v9, v8
	ds_write_b64 v4, v[0:1] offset:5984
	ds_read_b64 v[0:1], v69
	ds_read_b64 v[8:9], v4 offset:5632
	v_mov_b32_e32 v49, v45
	s_waitcnt lgkmcnt(0)
	v_add_f32_e32 v10, v0, v8
	v_add_f32_e32 v13, v1, v9
	v_sub_f32_e32 v0, v0, v8
	v_sub_f32_e32 v1, v1, v9
	v_mul_f32_e32 v14, 0.5, v0
	v_mul_f32_e32 v15, 0.5, v1
	v_lshlrev_b64 v[0:1], 3, v[48:49]
	v_mov_b32_e32 v8, s7
	v_add_co_u32_e64 v0, s[2:3], s6, v0
	v_addc_co_u32_e64 v1, s[2:3], v8, v1, s[2:3]
	global_load_dwordx2 v[0:1], v[0:1], off
	v_mul_f32_e32 v13, 0.5, v13
	s_waitcnt vmcnt(3)
	v_mul_f32_e32 v16, v12, v14
	v_fma_f32 v8, 0.5, v10, v16
	v_fma_f32 v9, v13, v12, v15
	v_fmac_f32_e32 v8, v11, v13
	v_fma_f32 v9, -v11, v14, v9
	ds_write_b64 v69, v[8:9]
	v_fma_f32 v8, v10, 0.5, -v16
	v_mov_b32_e32 v48, v45
	v_fma_f32 v8, -v11, v13, v8
	v_fma_f32 v9, v13, v12, -v15
	v_lshlrev_b64 v[12:13], 3, v[47:48]
	v_fma_f32 v9, -v11, v14, v9
	v_mov_b32_e32 v15, s7
	v_add_co_u32_e64 v12, s[2:3], s6, v12
	ds_write_b64 v4, v[8:9] offset:5632
	v_addc_co_u32_e64 v13, s[2:3], v15, v13, s[2:3]
	ds_read_b64 v[8:9], v68
	ds_read_b64 v[10:11], v4 offset:5280
	global_load_dwordx2 v[12:13], v[12:13], off
	s_waitcnt lgkmcnt(0)
	v_add_f32_e32 v14, v8, v10
	v_sub_f32_e32 v8, v8, v10
	v_add_f32_e32 v15, v9, v11
	v_sub_f32_e32 v9, v9, v11
	v_mul_f32_e32 v10, 0.5, v8
	v_mul_f32_e32 v15, 0.5, v15
	;; [unrolled: 1-line block ×3, first 2 shown]
	s_waitcnt vmcnt(3)
	v_mul_f32_e32 v16, v7, v10
	v_fma_f32 v8, 0.5, v14, v16
	v_fma_f32 v9, v15, v7, v11
	v_fmac_f32_e32 v8, v6, v15
	v_fma_f32 v9, -v6, v10, v9
	ds_write_b64 v68, v[8:9]
	v_fma_f32 v8, v14, 0.5, -v16
	v_fma_f32 v7, v15, v7, -v11
	v_fma_f32 v8, -v6, v15, v8
	v_fma_f32 v9, -v6, v10, v7
	ds_write_b64 v4, v[8:9] offset:5280
	ds_read_b64 v[6:7], v67
	ds_read_b64 v[8:9], v4 offset:4928
	s_waitcnt lgkmcnt(0)
	v_add_f32_e32 v10, v6, v8
	v_sub_f32_e32 v6, v6, v8
	v_add_f32_e32 v11, v7, v9
	v_sub_f32_e32 v7, v7, v9
	v_mul_f32_e32 v8, 0.5, v6
	v_mul_f32_e32 v11, 0.5, v11
	;; [unrolled: 1-line block ×3, first 2 shown]
	s_waitcnt vmcnt(2)
	v_mul_f32_e32 v14, v3, v8
	v_fma_f32 v6, 0.5, v10, v14
	v_fma_f32 v7, v11, v3, v9
	v_fmac_f32_e32 v6, v2, v11
	v_fma_f32 v7, -v2, v8, v7
	ds_write_b64 v67, v[6:7]
	v_fma_f32 v6, v10, 0.5, -v14
	v_fma_f32 v3, v11, v3, -v9
	v_fma_f32 v6, -v2, v11, v6
	v_fma_f32 v7, -v2, v8, v3
	ds_write_b64 v4, v[6:7] offset:4928
	v_add_u32_e32 v7, v62, v5
	ds_read_b64 v[2:3], v7
	ds_read_b64 v[5:6], v4 offset:4576
	s_waitcnt lgkmcnt(0)
	v_add_f32_e32 v8, v2, v5
	v_sub_f32_e32 v2, v2, v5
	v_add_f32_e32 v9, v3, v6
	v_sub_f32_e32 v3, v3, v6
	v_mul_f32_e32 v5, 0.5, v2
	v_mul_f32_e32 v9, 0.5, v9
	;; [unrolled: 1-line block ×3, first 2 shown]
	s_waitcnt vmcnt(1)
	v_mul_f32_e32 v10, v1, v5
	v_fma_f32 v2, 0.5, v8, v10
	v_fma_f32 v3, v9, v1, v6
	v_fmac_f32_e32 v2, v0, v9
	v_fma_f32 v3, -v0, v5, v3
	ds_write_b64 v7, v[2:3]
	v_fma_f32 v2, v8, 0.5, -v10
	v_fma_f32 v1, v9, v1, -v6
	v_fma_f32 v2, -v0, v9, v2
	v_fma_f32 v3, -v0, v5, v1
	ds_write_b64 v4, v[2:3] offset:4576
	ds_read_b64 v[0:1], v70
	ds_read_b64 v[2:3], v4 offset:4224
	s_waitcnt lgkmcnt(0)
	v_add_f32_e32 v5, v0, v2
	v_sub_f32_e32 v0, v0, v2
	v_add_f32_e32 v6, v1, v3
	v_sub_f32_e32 v1, v1, v3
	v_mul_f32_e32 v2, 0.5, v0
	v_mul_f32_e32 v6, 0.5, v6
	;; [unrolled: 1-line block ×3, first 2 shown]
	s_waitcnt vmcnt(0)
	v_mul_f32_e32 v7, v13, v2
	v_fma_f32 v0, 0.5, v5, v7
	v_fma_f32 v1, v6, v13, v3
	v_fmac_f32_e32 v0, v12, v6
	v_fma_f32 v1, -v12, v2, v1
	ds_write_b64 v70, v[0:1]
	v_fma_f32 v0, v5, 0.5, -v7
	v_fma_f32 v1, v6, v13, -v3
	v_fma_f32 v0, -v12, v6, v0
	v_fma_f32 v1, -v12, v2, v1
	ds_write_b64 v4, v[0:1] offset:4224
	s_and_saveexec_b64 s[2:3], s[0:1]
	s_cbranch_execz .LBB0_29
; %bb.28:
	v_mov_b32_e32 v47, v45
	v_lshlrev_b64 v[0:1], 3, v[46:47]
	v_mov_b32_e32 v2, s7
	v_add_co_u32_e64 v0, s[0:1], s6, v0
	v_addc_co_u32_e64 v1, s[0:1], v2, v1, s[0:1]
	global_load_dwordx2 v[0:1], v[0:1], off
	ds_read_b64 v[2:3], v61
	ds_read_b64 v[5:6], v4 offset:3872
	s_waitcnt lgkmcnt(0)
	v_add_f32_e32 v7, v2, v5
	v_sub_f32_e32 v2, v2, v5
	v_add_f32_e32 v8, v3, v6
	v_sub_f32_e32 v3, v3, v6
	v_mul_f32_e32 v6, 0.5, v2
	v_mul_f32_e32 v5, 0.5, v8
	v_mul_f32_e32 v2, 0.5, v3
	s_waitcnt vmcnt(0)
	v_mul_f32_e32 v3, v1, v6
	v_fma_f32 v8, v5, v1, v2
	v_fma_f32 v9, v5, v1, -v2
	v_fma_f32 v1, 0.5, v7, v3
	v_fma_f32 v2, -v0, v6, v8
	v_fma_f32 v3, v7, 0.5, -v3
	v_fmac_f32_e32 v1, v0, v5
	v_fma_f32 v6, -v0, v6, v9
	v_fma_f32 v5, -v0, v5, v3
	ds_write_b64 v61, v[1:2]
	ds_write_b64 v4, v[5:6] offset:3872
.LBB0_29:
	s_or_b64 exec, exec, s[2:3]
	s_waitcnt lgkmcnt(0)
	; wave barrier
	s_waitcnt lgkmcnt(0)
	s_and_saveexec_b64 s[0:1], vcc
	s_cbranch_execz .LBB0_32
; %bb.30:
	v_mov_b32_e32 v41, 0
	ds_read2_b64 v[2:5], v60 offset1:44
	v_mov_b32_e32 v0, s13
	v_add_co_u32_e32 v1, vcc, s12, v42
	v_lshlrev_b64 v[10:11], 3, v[40:41]
	ds_read2_b64 v[6:9], v60 offset0:88 offset1:132
	v_addc_co_u32_e32 v0, vcc, v0, v43, vcc
	v_add_co_u32_e32 v14, vcc, v1, v10
	v_addc_co_u32_e32 v15, vcc, v0, v11, vcc
	s_waitcnt lgkmcnt(1)
	global_store_dwordx2 v[14:15], v[2:3], off
	global_store_dwordx2 v[14:15], v[4:5], off offset:352
	ds_read2_b64 v[2:5], v60 offset0:176 offset1:220
	s_waitcnt lgkmcnt(1)
	global_store_dwordx2 v[14:15], v[6:7], off offset:704
	global_store_dwordx2 v[14:15], v[8:9], off offset:1056
	v_add_u32_e32 v16, 0x800, v60
	ds_read2_b64 v[6:9], v16 offset0:8 offset1:52
	ds_read2_b64 v[10:13], v16 offset0:96 offset1:140
	s_waitcnt lgkmcnt(2)
	global_store_dwordx2 v[14:15], v[2:3], off offset:1408
	global_store_dwordx2 v[14:15], v[4:5], off offset:1760
	ds_read2_b64 v[2:5], v16 offset0:184 offset1:228
	s_waitcnt lgkmcnt(2)
	global_store_dwordx2 v[14:15], v[6:7], off offset:2112
	global_store_dwordx2 v[14:15], v[8:9], off offset:2464
	s_waitcnt lgkmcnt(1)
	global_store_dwordx2 v[14:15], v[10:11], off offset:2816
	global_store_dwordx2 v[14:15], v[12:13], off offset:3168
	s_waitcnt lgkmcnt(0)
	global_store_dwordx2 v[14:15], v[2:3], off offset:3520
	global_store_dwordx2 v[14:15], v[4:5], off offset:3872
	v_add_u32_e32 v12, 0x1000, v60
	ds_read2_b64 v[2:5], v12 offset0:16 offset1:60
	ds_read2_b64 v[6:9], v12 offset0:104 offset1:148
	s_movk_i32 s0, 0x1000
	v_add_co_u32_e32 v10, vcc, s0, v14
	v_addc_co_u32_e32 v11, vcc, 0, v15, vcc
	s_waitcnt lgkmcnt(1)
	global_store_dwordx2 v[10:11], v[2:3], off offset:128
	global_store_dwordx2 v[10:11], v[4:5], off offset:480
	s_waitcnt lgkmcnt(0)
	global_store_dwordx2 v[10:11], v[6:7], off offset:832
	global_store_dwordx2 v[10:11], v[8:9], off offset:1184
	v_or_b32_e32 v6, 0x2c0, v40
	v_mov_b32_e32 v7, v41
	ds_read2_b64 v[2:5], v12 offset0:192 offset1:236
	v_lshlrev_b64 v[12:13], 3, v[6:7]
	v_add_u32_e32 v6, 0x1800, v60
	ds_read2_b64 v[6:9], v6 offset0:24 offset1:68
	v_add_co_u32_e32 v12, vcc, v1, v12
	v_addc_co_u32_e32 v13, vcc, v0, v13, vcc
	ds_read_b64 v[14:15], v60 offset:7040
	v_cmp_eq_u32_e32 vcc, 43, v40
	s_waitcnt lgkmcnt(2)
	global_store_dwordx2 v[12:13], v[2:3], off
	global_store_dwordx2 v[10:11], v[4:5], off offset:1888
	s_waitcnt lgkmcnt(1)
	global_store_dwordx2 v[10:11], v[6:7], off offset:2240
	global_store_dwordx2 v[10:11], v[8:9], off offset:2592
	s_waitcnt lgkmcnt(0)
	global_store_dwordx2 v[10:11], v[14:15], off offset:2944
	s_and_b64 exec, exec, vcc
	s_cbranch_execz .LBB0_32
; %bb.31:
	ds_read_b64 v[2:3], v41 offset:7392
	v_add_co_u32_e32 v4, vcc, 0x1000, v1
	v_addc_co_u32_e32 v5, vcc, 0, v0, vcc
	s_waitcnt lgkmcnt(0)
	global_store_dwordx2 v[4:5], v[2:3], off offset:3296
.LBB0_32:
	s_endpgm
	.section	.rodata,"a",@progbits
	.p2align	6, 0x0
	.amdhsa_kernel fft_rtc_back_len924_factors_2_2_3_7_11_wgs_44_tpt_44_halfLds_sp_ip_CI_unitstride_sbrr_R2C_dirReg
		.amdhsa_group_segment_fixed_size 0
		.amdhsa_private_segment_fixed_size 0
		.amdhsa_kernarg_size 88
		.amdhsa_user_sgpr_count 6
		.amdhsa_user_sgpr_private_segment_buffer 1
		.amdhsa_user_sgpr_dispatch_ptr 0
		.amdhsa_user_sgpr_queue_ptr 0
		.amdhsa_user_sgpr_kernarg_segment_ptr 1
		.amdhsa_user_sgpr_dispatch_id 0
		.amdhsa_user_sgpr_flat_scratch_init 0
		.amdhsa_user_sgpr_private_segment_size 0
		.amdhsa_uses_dynamic_stack 0
		.amdhsa_system_sgpr_private_segment_wavefront_offset 0
		.amdhsa_system_sgpr_workgroup_id_x 1
		.amdhsa_system_sgpr_workgroup_id_y 0
		.amdhsa_system_sgpr_workgroup_id_z 0
		.amdhsa_system_sgpr_workgroup_info 0
		.amdhsa_system_vgpr_workitem_id 0
		.amdhsa_next_free_vgpr 117
		.amdhsa_next_free_sgpr 22
		.amdhsa_reserve_vcc 1
		.amdhsa_reserve_flat_scratch 0
		.amdhsa_float_round_mode_32 0
		.amdhsa_float_round_mode_16_64 0
		.amdhsa_float_denorm_mode_32 3
		.amdhsa_float_denorm_mode_16_64 3
		.amdhsa_dx10_clamp 1
		.amdhsa_ieee_mode 1
		.amdhsa_fp16_overflow 0
		.amdhsa_exception_fp_ieee_invalid_op 0
		.amdhsa_exception_fp_denorm_src 0
		.amdhsa_exception_fp_ieee_div_zero 0
		.amdhsa_exception_fp_ieee_overflow 0
		.amdhsa_exception_fp_ieee_underflow 0
		.amdhsa_exception_fp_ieee_inexact 0
		.amdhsa_exception_int_div_zero 0
	.end_amdhsa_kernel
	.text
.Lfunc_end0:
	.size	fft_rtc_back_len924_factors_2_2_3_7_11_wgs_44_tpt_44_halfLds_sp_ip_CI_unitstride_sbrr_R2C_dirReg, .Lfunc_end0-fft_rtc_back_len924_factors_2_2_3_7_11_wgs_44_tpt_44_halfLds_sp_ip_CI_unitstride_sbrr_R2C_dirReg
                                        ; -- End function
	.section	.AMDGPU.csdata,"",@progbits
; Kernel info:
; codeLenInByte = 14284
; NumSgprs: 26
; NumVgprs: 117
; ScratchSize: 0
; MemoryBound: 0
; FloatMode: 240
; IeeeMode: 1
; LDSByteSize: 0 bytes/workgroup (compile time only)
; SGPRBlocks: 3
; VGPRBlocks: 29
; NumSGPRsForWavesPerEU: 26
; NumVGPRsForWavesPerEU: 117
; Occupancy: 2
; WaveLimiterHint : 1
; COMPUTE_PGM_RSRC2:SCRATCH_EN: 0
; COMPUTE_PGM_RSRC2:USER_SGPR: 6
; COMPUTE_PGM_RSRC2:TRAP_HANDLER: 0
; COMPUTE_PGM_RSRC2:TGID_X_EN: 1
; COMPUTE_PGM_RSRC2:TGID_Y_EN: 0
; COMPUTE_PGM_RSRC2:TGID_Z_EN: 0
; COMPUTE_PGM_RSRC2:TIDIG_COMP_CNT: 0
	.type	__hip_cuid_26dad3f1526765b2,@object ; @__hip_cuid_26dad3f1526765b2
	.section	.bss,"aw",@nobits
	.globl	__hip_cuid_26dad3f1526765b2
__hip_cuid_26dad3f1526765b2:
	.byte	0                               ; 0x0
	.size	__hip_cuid_26dad3f1526765b2, 1

	.ident	"AMD clang version 19.0.0git (https://github.com/RadeonOpenCompute/llvm-project roc-6.4.0 25133 c7fe45cf4b819c5991fe208aaa96edf142730f1d)"
	.section	".note.GNU-stack","",@progbits
	.addrsig
	.addrsig_sym __hip_cuid_26dad3f1526765b2
	.amdgpu_metadata
---
amdhsa.kernels:
  - .args:
      - .actual_access:  read_only
        .address_space:  global
        .offset:         0
        .size:           8
        .value_kind:     global_buffer
      - .offset:         8
        .size:           8
        .value_kind:     by_value
      - .actual_access:  read_only
        .address_space:  global
        .offset:         16
        .size:           8
        .value_kind:     global_buffer
      - .actual_access:  read_only
        .address_space:  global
        .offset:         24
        .size:           8
        .value_kind:     global_buffer
      - .offset:         32
        .size:           8
        .value_kind:     by_value
      - .actual_access:  read_only
        .address_space:  global
        .offset:         40
        .size:           8
        .value_kind:     global_buffer
      - .actual_access:  read_only
        .address_space:  global
        .offset:         48
        .size:           8
        .value_kind:     global_buffer
      - .offset:         56
        .size:           4
        .value_kind:     by_value
      - .actual_access:  read_only
        .address_space:  global
        .offset:         64
        .size:           8
        .value_kind:     global_buffer
      - .actual_access:  read_only
        .address_space:  global
        .offset:         72
        .size:           8
        .value_kind:     global_buffer
      - .address_space:  global
        .offset:         80
        .size:           8
        .value_kind:     global_buffer
    .group_segment_fixed_size: 0
    .kernarg_segment_align: 8
    .kernarg_segment_size: 88
    .language:       OpenCL C
    .language_version:
      - 2
      - 0
    .max_flat_workgroup_size: 44
    .name:           fft_rtc_back_len924_factors_2_2_3_7_11_wgs_44_tpt_44_halfLds_sp_ip_CI_unitstride_sbrr_R2C_dirReg
    .private_segment_fixed_size: 0
    .sgpr_count:     26
    .sgpr_spill_count: 0
    .symbol:         fft_rtc_back_len924_factors_2_2_3_7_11_wgs_44_tpt_44_halfLds_sp_ip_CI_unitstride_sbrr_R2C_dirReg.kd
    .uniform_work_group_size: 1
    .uses_dynamic_stack: false
    .vgpr_count:     117
    .vgpr_spill_count: 0
    .wavefront_size: 64
amdhsa.target:   amdgcn-amd-amdhsa--gfx906
amdhsa.version:
  - 1
  - 2
...

	.end_amdgpu_metadata
